;; amdgpu-corpus repo=ROCm/rocFFT kind=compiled arch=gfx1030 opt=O3
	.text
	.amdgcn_target "amdgcn-amd-amdhsa--gfx1030"
	.amdhsa_code_object_version 6
	.protected	fft_rtc_fwd_len2000_factors_5_5_5_16_wgs_125_tpt_125_halfLds_half_op_CI_CI_sbrr_dirReg ; -- Begin function fft_rtc_fwd_len2000_factors_5_5_5_16_wgs_125_tpt_125_halfLds_half_op_CI_CI_sbrr_dirReg
	.globl	fft_rtc_fwd_len2000_factors_5_5_5_16_wgs_125_tpt_125_halfLds_half_op_CI_CI_sbrr_dirReg
	.p2align	8
	.type	fft_rtc_fwd_len2000_factors_5_5_5_16_wgs_125_tpt_125_halfLds_half_op_CI_CI_sbrr_dirReg,@function
fft_rtc_fwd_len2000_factors_5_5_5_16_wgs_125_tpt_125_halfLds_half_op_CI_CI_sbrr_dirReg: ; @fft_rtc_fwd_len2000_factors_5_5_5_16_wgs_125_tpt_125_halfLds_half_op_CI_CI_sbrr_dirReg
; %bb.0:
	s_clause 0x2
	s_load_dwordx4 s[16:19], s[4:5], 0x18
	s_load_dwordx4 s[12:15], s[4:5], 0x0
	;; [unrolled: 1-line block ×3, first 2 shown]
	v_mul_u32_u24_e32 v1, 0x20d, v0
	v_mov_b32_e32 v3, 0
	s_waitcnt lgkmcnt(0)
	s_load_dwordx2 s[20:21], s[16:17], 0x0
	s_load_dwordx2 s[2:3], s[18:19], 0x0
	v_cmp_lt_u64_e64 s0, s[14:15], 2
	v_add_nc_u32_sdwa v5, s6, v1 dst_sel:DWORD dst_unused:UNUSED_PAD src0_sel:DWORD src1_sel:WORD_1
	v_mov_b32_e32 v1, 0
	v_mov_b32_e32 v6, v3
	;; [unrolled: 1-line block ×3, first 2 shown]
	s_and_b32 vcc_lo, exec_lo, s0
	s_cbranch_vccnz .LBB0_8
; %bb.1:
	s_load_dwordx2 s[0:1], s[4:5], 0x10
	v_mov_b32_e32 v1, 0
	v_mov_b32_e32 v2, 0
	s_add_u32 s6, s18, 8
	s_addc_u32 s7, s19, 0
	s_add_u32 s22, s16, 8
	s_addc_u32 s23, s17, 0
	v_mov_b32_e32 v16, v2
	v_mov_b32_e32 v15, v1
	s_mov_b64 s[26:27], 1
	s_waitcnt lgkmcnt(0)
	s_add_u32 s24, s0, 8
	s_addc_u32 s25, s1, 0
.LBB0_2:                                ; =>This Inner Loop Header: Depth=1
	s_load_dwordx2 s[28:29], s[24:25], 0x0
                                        ; implicit-def: $vgpr17_vgpr18
	s_mov_b32 s0, exec_lo
	s_waitcnt lgkmcnt(0)
	v_or_b32_e32 v4, s29, v6
	v_cmpx_ne_u64_e32 0, v[3:4]
	s_xor_b32 s1, exec_lo, s0
	s_cbranch_execz .LBB0_4
; %bb.3:                                ;   in Loop: Header=BB0_2 Depth=1
	v_cvt_f32_u32_e32 v4, s28
	v_cvt_f32_u32_e32 v7, s29
	s_sub_u32 s0, 0, s28
	s_subb_u32 s30, 0, s29
	v_fmac_f32_e32 v4, 0x4f800000, v7
	v_rcp_f32_e32 v4, v4
	v_mul_f32_e32 v4, 0x5f7ffffc, v4
	v_mul_f32_e32 v7, 0x2f800000, v4
	v_trunc_f32_e32 v7, v7
	v_fmac_f32_e32 v4, 0xcf800000, v7
	v_cvt_u32_f32_e32 v7, v7
	v_cvt_u32_f32_e32 v4, v4
	v_mul_lo_u32 v8, s0, v7
	v_mul_hi_u32 v9, s0, v4
	v_mul_lo_u32 v10, s30, v4
	v_add_nc_u32_e32 v8, v9, v8
	v_mul_lo_u32 v9, s0, v4
	v_add_nc_u32_e32 v8, v8, v10
	v_mul_hi_u32 v10, v4, v9
	v_mul_lo_u32 v11, v4, v8
	v_mul_hi_u32 v12, v4, v8
	v_mul_hi_u32 v13, v7, v9
	v_mul_lo_u32 v9, v7, v9
	v_mul_hi_u32 v14, v7, v8
	v_mul_lo_u32 v8, v7, v8
	v_add_co_u32 v10, vcc_lo, v10, v11
	v_add_co_ci_u32_e32 v11, vcc_lo, 0, v12, vcc_lo
	v_add_co_u32 v9, vcc_lo, v10, v9
	v_add_co_ci_u32_e32 v9, vcc_lo, v11, v13, vcc_lo
	v_add_co_ci_u32_e32 v10, vcc_lo, 0, v14, vcc_lo
	v_add_co_u32 v8, vcc_lo, v9, v8
	v_add_co_ci_u32_e32 v9, vcc_lo, 0, v10, vcc_lo
	v_add_co_u32 v4, vcc_lo, v4, v8
	v_add_co_ci_u32_e32 v7, vcc_lo, v7, v9, vcc_lo
	v_mul_hi_u32 v8, s0, v4
	v_mul_lo_u32 v10, s30, v4
	v_mul_lo_u32 v9, s0, v7
	v_add_nc_u32_e32 v8, v8, v9
	v_mul_lo_u32 v9, s0, v4
	v_add_nc_u32_e32 v8, v8, v10
	v_mul_hi_u32 v10, v4, v9
	v_mul_lo_u32 v11, v4, v8
	v_mul_hi_u32 v12, v4, v8
	v_mul_hi_u32 v13, v7, v9
	v_mul_lo_u32 v9, v7, v9
	v_mul_hi_u32 v14, v7, v8
	v_mul_lo_u32 v8, v7, v8
	v_add_co_u32 v10, vcc_lo, v10, v11
	v_add_co_ci_u32_e32 v11, vcc_lo, 0, v12, vcc_lo
	v_add_co_u32 v9, vcc_lo, v10, v9
	v_add_co_ci_u32_e32 v9, vcc_lo, v11, v13, vcc_lo
	v_add_co_ci_u32_e32 v10, vcc_lo, 0, v14, vcc_lo
	v_add_co_u32 v8, vcc_lo, v9, v8
	v_add_co_ci_u32_e32 v9, vcc_lo, 0, v10, vcc_lo
	v_add_co_u32 v4, vcc_lo, v4, v8
	v_add_co_ci_u32_e32 v11, vcc_lo, v7, v9, vcc_lo
	v_mul_hi_u32 v13, v5, v4
	v_mad_u64_u32 v[9:10], null, v6, v4, 0
	v_mad_u64_u32 v[7:8], null, v5, v11, 0
	v_mad_u64_u32 v[11:12], null, v6, v11, 0
	v_add_co_u32 v4, vcc_lo, v13, v7
	v_add_co_ci_u32_e32 v7, vcc_lo, 0, v8, vcc_lo
	v_add_co_u32 v4, vcc_lo, v4, v9
	v_add_co_ci_u32_e32 v4, vcc_lo, v7, v10, vcc_lo
	v_add_co_ci_u32_e32 v7, vcc_lo, 0, v12, vcc_lo
	v_add_co_u32 v4, vcc_lo, v4, v11
	v_add_co_ci_u32_e32 v9, vcc_lo, 0, v7, vcc_lo
	v_mul_lo_u32 v10, s29, v4
	v_mad_u64_u32 v[7:8], null, s28, v4, 0
	v_mul_lo_u32 v11, s28, v9
	v_sub_co_u32 v7, vcc_lo, v5, v7
	v_add3_u32 v8, v8, v11, v10
	v_sub_nc_u32_e32 v10, v6, v8
	v_subrev_co_ci_u32_e64 v10, s0, s29, v10, vcc_lo
	v_add_co_u32 v11, s0, v4, 2
	v_add_co_ci_u32_e64 v12, s0, 0, v9, s0
	v_sub_co_u32 v13, s0, v7, s28
	v_sub_co_ci_u32_e32 v8, vcc_lo, v6, v8, vcc_lo
	v_subrev_co_ci_u32_e64 v10, s0, 0, v10, s0
	v_cmp_le_u32_e32 vcc_lo, s28, v13
	v_cmp_eq_u32_e64 s0, s29, v8
	v_cndmask_b32_e64 v13, 0, -1, vcc_lo
	v_cmp_le_u32_e32 vcc_lo, s29, v10
	v_cndmask_b32_e64 v14, 0, -1, vcc_lo
	v_cmp_le_u32_e32 vcc_lo, s28, v7
	;; [unrolled: 2-line block ×3, first 2 shown]
	v_cndmask_b32_e64 v17, 0, -1, vcc_lo
	v_cmp_eq_u32_e32 vcc_lo, s29, v10
	v_cndmask_b32_e64 v7, v17, v7, s0
	v_cndmask_b32_e32 v10, v14, v13, vcc_lo
	v_add_co_u32 v13, vcc_lo, v4, 1
	v_add_co_ci_u32_e32 v14, vcc_lo, 0, v9, vcc_lo
	v_cmp_ne_u32_e32 vcc_lo, 0, v10
	v_cndmask_b32_e32 v8, v14, v12, vcc_lo
	v_cndmask_b32_e32 v10, v13, v11, vcc_lo
	v_cmp_ne_u32_e32 vcc_lo, 0, v7
	v_cndmask_b32_e32 v18, v9, v8, vcc_lo
	v_cndmask_b32_e32 v17, v4, v10, vcc_lo
.LBB0_4:                                ;   in Loop: Header=BB0_2 Depth=1
	s_andn2_saveexec_b32 s0, s1
	s_cbranch_execz .LBB0_6
; %bb.5:                                ;   in Loop: Header=BB0_2 Depth=1
	v_cvt_f32_u32_e32 v4, s28
	s_sub_i32 s1, 0, s28
	v_mov_b32_e32 v18, v3
	v_rcp_iflag_f32_e32 v4, v4
	v_mul_f32_e32 v4, 0x4f7ffffe, v4
	v_cvt_u32_f32_e32 v4, v4
	v_mul_lo_u32 v7, s1, v4
	v_mul_hi_u32 v7, v4, v7
	v_add_nc_u32_e32 v4, v4, v7
	v_mul_hi_u32 v4, v5, v4
	v_mul_lo_u32 v7, v4, s28
	v_add_nc_u32_e32 v8, 1, v4
	v_sub_nc_u32_e32 v7, v5, v7
	v_subrev_nc_u32_e32 v9, s28, v7
	v_cmp_le_u32_e32 vcc_lo, s28, v7
	v_cndmask_b32_e32 v7, v7, v9, vcc_lo
	v_cndmask_b32_e32 v4, v4, v8, vcc_lo
	v_cmp_le_u32_e32 vcc_lo, s28, v7
	v_add_nc_u32_e32 v8, 1, v4
	v_cndmask_b32_e32 v17, v4, v8, vcc_lo
.LBB0_6:                                ;   in Loop: Header=BB0_2 Depth=1
	s_or_b32 exec_lo, exec_lo, s0
	v_mul_lo_u32 v4, v18, s28
	v_mul_lo_u32 v9, v17, s29
	s_load_dwordx2 s[0:1], s[22:23], 0x0
	v_mad_u64_u32 v[7:8], null, v17, s28, 0
	s_load_dwordx2 s[28:29], s[6:7], 0x0
	s_add_u32 s26, s26, 1
	s_addc_u32 s27, s27, 0
	s_add_u32 s6, s6, 8
	s_addc_u32 s7, s7, 0
	s_add_u32 s22, s22, 8
	v_add3_u32 v4, v8, v9, v4
	v_sub_co_u32 v5, vcc_lo, v5, v7
	s_addc_u32 s23, s23, 0
	s_add_u32 s24, s24, 8
	v_sub_co_ci_u32_e32 v4, vcc_lo, v6, v4, vcc_lo
	s_addc_u32 s25, s25, 0
	s_waitcnt lgkmcnt(0)
	v_mul_lo_u32 v6, s0, v4
	v_mul_lo_u32 v7, s1, v5
	v_mad_u64_u32 v[1:2], null, s0, v5, v[1:2]
	v_mul_lo_u32 v4, s28, v4
	v_mul_lo_u32 v8, s29, v5
	v_mad_u64_u32 v[15:16], null, s28, v5, v[15:16]
	v_cmp_ge_u64_e64 s0, s[26:27], s[14:15]
	v_add3_u32 v2, v7, v2, v6
	v_add3_u32 v16, v8, v16, v4
	s_and_b32 vcc_lo, exec_lo, s0
	s_cbranch_vccnz .LBB0_9
; %bb.7:                                ;   in Loop: Header=BB0_2 Depth=1
	v_mov_b32_e32 v5, v17
	v_mov_b32_e32 v6, v18
	s_branch .LBB0_2
.LBB0_8:
	v_mov_b32_e32 v16, v2
	v_mov_b32_e32 v18, v6
	;; [unrolled: 1-line block ×4, first 2 shown]
.LBB0_9:
	s_load_dwordx2 s[0:1], s[4:5], 0x28
	v_mul_hi_u32 v23, 0x20c49bb, v0
	s_lshl_b64 s[6:7], s[14:15], 3
                                        ; implicit-def: $sgpr14
                                        ; implicit-def: $vgpr8
                                        ; implicit-def: $vgpr9
                                        ; implicit-def: $vgpr10
	s_add_u32 s4, s18, s6
	s_addc_u32 s5, s19, s7
	s_waitcnt lgkmcnt(0)
	v_cmp_gt_u64_e32 vcc_lo, s[0:1], v[17:18]
	v_cmp_le_u64_e64 s0, s[0:1], v[17:18]
	s_and_saveexec_b32 s1, s0
	s_xor_b32 s0, exec_lo, s1
; %bb.10:
	v_mul_u32_u24_e32 v1, 0x7d, v23
	s_mov_b32 s14, 0
                                        ; implicit-def: $vgpr23
	v_sub_nc_u32_e32 v8, v0, v1
                                        ; implicit-def: $vgpr0
                                        ; implicit-def: $vgpr1_vgpr2
	v_add_nc_u32_e32 v9, 0x7d, v8
	v_add_nc_u32_e32 v10, 0xfa, v8
; %bb.11:
	s_or_saveexec_b32 s1, s0
	s_load_dwordx2 s[4:5], s[4:5], 0x0
	v_mov_b32_e32 v19, s14
                                        ; implicit-def: $vgpr49
                                        ; implicit-def: $vgpr11
                                        ; implicit-def: $vgpr35
                                        ; implicit-def: $vgpr20
                                        ; implicit-def: $vgpr26
                                        ; implicit-def: $vgpr32
                                        ; implicit-def: $vgpr14
                                        ; implicit-def: $vgpr13
                                        ; implicit-def: $vgpr3
                                        ; implicit-def: $vgpr22
                                        ; implicit-def: $vgpr5
                                        ; implicit-def: $vgpr12
                                        ; implicit-def: $vgpr6
                                        ; implicit-def: $vgpr7
                                        ; implicit-def: $vgpr4
                                        ; implicit-def: $vgpr21
                                        ; implicit-def: $vgpr24
                                        ; implicit-def: $vgpr25
                                        ; implicit-def: $vgpr29
                                        ; implicit-def: $vgpr30
                                        ; implicit-def: $vgpr48
                                        ; implicit-def: $vgpr27
                                        ; implicit-def: $vgpr51
                                        ; implicit-def: $vgpr52
                                        ; implicit-def: $vgpr53
                                        ; implicit-def: $vgpr50
                                        ; implicit-def: $vgpr54
                                        ; implicit-def: $vgpr55
	s_xor_b32 exec_lo, exec_lo, s1
	s_cbranch_execz .LBB0_15
; %bb.12:
	s_add_u32 s6, s16, s6
	s_addc_u32 s7, s17, s7
	v_mul_u32_u24_e32 v3, 0x7d, v23
	s_load_dwordx2 s[6:7], s[6:7], 0x0
	v_sub_nc_u32_e32 v8, v0, v3
	v_lshlrev_b64 v[0:1], 2, v[1:2]
	v_mad_u64_u32 v[3:4], null, s20, v8, 0
	v_add_nc_u32_e32 v7, 0x190, v8
	v_add_nc_u32_e32 v9, 0x320, v8
	;; [unrolled: 1-line block ×4, first 2 shown]
	v_mad_u64_u32 v[5:6], null, s20, v7, 0
	v_mov_b32_e32 v2, v4
	v_mad_u64_u32 v[10:11], null, s20, v9, 0
	s_waitcnt lgkmcnt(0)
	v_mul_lo_u32 v4, s7, v17
	v_mul_lo_u32 v14, s6, v18
	v_mad_u64_u32 v[12:13], null, s6, v17, 0
	v_mad_u64_u32 v[19:20], null, s21, v8, v[2:3]
	v_mov_b32_e32 v2, v6
	v_mov_b32_e32 v6, v11
	v_mad_u64_u32 v[20:21], null, s20, v25, 0
	v_add3_u32 v13, v13, v14, v4
	v_mad_u64_u32 v[22:23], null, s21, v7, v[2:3]
	v_mov_b32_e32 v4, v19
	v_mad_u64_u32 v[23:24], null, s20, v26, 0
	v_lshlrev_b64 v[11:12], 2, v[12:13]
	v_mad_u64_u32 v[13:14], null, s21, v9, v[6:7]
	v_lshlrev_b64 v[3:4], 2, v[3:4]
	v_mov_b32_e32 v2, v21
	v_mov_b32_e32 v6, v22
	v_add_co_u32 v7, s0, s8, v11
	v_add_co_ci_u32_e64 v9, s0, s9, v12, s0
	v_mov_b32_e32 v11, v13
	v_add_co_u32 v0, s0, v7, v0
	v_add_co_ci_u32_e64 v1, s0, v9, v1, s0
	v_add_nc_u32_e32 v9, 0x7d, v8
	v_add_co_u32 v3, s0, v0, v3
	v_lshlrev_b64 v[5:6], 2, v[5:6]
	v_lshlrev_b64 v[10:11], 2, v[10:11]
	v_add_co_ci_u32_e64 v4, s0, v1, v4, s0
	v_mad_u64_u32 v[12:13], null, s21, v25, v[2:3]
	v_mov_b32_e32 v2, v24
	v_add_co_u32 v5, s0, v0, v5
	v_add_nc_u32_e32 v7, 0x20d, v8
	v_add_co_ci_u32_e64 v6, s0, v1, v6, s0
	v_mov_b32_e32 v21, v12
	v_mad_u64_u32 v[12:13], null, s20, v9, 0
	v_mad_u64_u32 v[24:25], null, s21, v26, v[2:3]
	v_add_co_u32 v25, s0, v0, v10
	v_add_co_ci_u32_e64 v26, s0, v1, v11, s0
	v_mov_b32_e32 v2, v13
	v_lshlrev_b64 v[10:11], 2, v[20:21]
	v_mad_u64_u32 v[19:20], null, s20, v7, 0
	s_mov_b32 s6, exec_lo
	v_mad_u64_u32 v[13:14], null, s21, v9, v[2:3]
	v_add_nc_u32_e32 v14, 0x39d, v8
	v_add_co_u32 v21, s0, v0, v10
	v_add_co_ci_u32_e64 v22, s0, v1, v11, s0
	v_lshlrev_b64 v[10:11], 2, v[23:24]
	v_mad_u64_u32 v[23:24], null, s20, v14, 0
	v_mov_b32_e32 v2, v20
	v_mad_u64_u32 v[27:28], null, s21, v7, v[2:3]
	v_mov_b32_e32 v2, v24
	v_add_nc_u32_e32 v7, 0x52d, v8
	v_add_co_u32 v28, s0, v0, v10
	v_add_co_ci_u32_e64 v29, s0, v1, v11, s0
	v_lshlrev_b64 v[10:11], 2, v[12:13]
	v_mad_u64_u32 v[12:13], null, s21, v14, v[2:3]
	v_mov_b32_e32 v20, v27
	v_mad_u64_u32 v[13:14], null, s20, v7, 0
	v_add_nc_u32_e32 v27, 0x6bd, v8
	v_add_co_u32 v30, s0, v0, v10
	v_add_co_ci_u32_e64 v31, s0, v1, v11, s0
	v_mad_u64_u32 v[34:35], null, s20, v27, 0
	v_mov_b32_e32 v24, v12
	v_lshlrev_b64 v[10:11], 2, v[19:20]
	v_mov_b32_e32 v2, v14
	v_lshlrev_b64 v[19:20], 2, v[23:24]
	v_mad_u64_u32 v[23:24], null, s21, v7, v[2:3]
	v_mov_b32_e32 v2, v35
	v_add_co_u32 v32, s0, v0, v10
	v_add_nc_u32_e32 v10, 0xfa, v8
	v_add_nc_u32_e32 v24, 0x28a, v8
	v_mad_u64_u32 v[37:38], null, s21, v27, v[2:3]
	v_add_co_ci_u32_e64 v33, s0, v1, v11, s0
	v_mad_u64_u32 v[38:39], null, s20, v10, 0
	v_add_co_u32 v35, s0, v0, v19
	v_add_co_ci_u32_e64 v36, s0, v1, v20, s0
	v_mov_b32_e32 v14, v23
	s_clause 0x7
	global_load_dword v11, v[3:4], off
	global_load_dword v2, v[5:6], off
	global_load_dword v19, v[25:26], off
	global_load_dword v23, v[21:22], off
	global_load_dword v28, v[28:29], off
	global_load_dword v20, v[30:31], off
	global_load_dword v31, v[32:33], off
	global_load_dword v33, v[35:36], off
	v_mad_u64_u32 v[6:7], null, s20, v24, 0
	v_mov_b32_e32 v5, v39
	v_lshlrev_b64 v[3:4], 2, v[13:14]
	v_add_nc_u32_e32 v27, 0x41a, v8
	v_mov_b32_e32 v35, v37
	v_add_nc_u32_e32 v32, 0x73a, v8
	v_mad_u64_u32 v[12:13], null, s21, v10, v[5:6]
	v_mad_u64_u32 v[13:14], null, s20, v27, 0
	v_mov_b32_e32 v5, v7
	v_lshlrev_b64 v[21:22], 2, v[34:35]
	v_mad_u64_u32 v[34:35], null, s20, v32, 0
	v_mov_b32_e32 v39, v12
	v_add_nc_u32_e32 v12, 0x5aa, v8
	v_mad_u64_u32 v[24:25], null, s21, v24, v[5:6]
	v_mov_b32_e32 v5, v14
	v_add_co_u32 v3, s0, v0, v3
	v_mad_u64_u32 v[25:26], null, s20, v12, 0
	v_mad_u64_u32 v[29:30], null, s21, v27, v[5:6]
	v_mov_b32_e32 v7, v24
	v_add_co_ci_u32_e64 v4, s0, v1, v4, s0
	v_add_co_u32 v21, s0, v0, v21
	v_mov_b32_e32 v5, v26
	v_mov_b32_e32 v14, v29
	v_lshlrev_b64 v[26:27], 2, v[38:39]
	v_add_co_ci_u32_e64 v22, s0, v1, v22, s0
	v_mad_u64_u32 v[29:30], null, s21, v12, v[5:6]
	v_lshlrev_b64 v[6:7], 2, v[6:7]
	v_mov_b32_e32 v5, v35
	v_add_co_u32 v37, s0, v0, v26
	v_lshlrev_b64 v[12:13], 2, v[13:14]
	v_add_co_ci_u32_e64 v38, s0, v1, v27, s0
	v_mad_u64_u32 v[35:36], null, s21, v32, v[5:6]
	v_mov_b32_e32 v26, v29
	v_add_co_u32 v5, s0, v0, v6
	v_add_co_ci_u32_e64 v6, s0, v1, v7, s0
	v_lshlrev_b64 v[24:25], 2, v[25:26]
	v_add_co_u32 v12, s0, v0, v12
	v_lshlrev_b64 v[26:27], 2, v[34:35]
	v_add_co_ci_u32_e64 v13, s0, v1, v13, s0
	v_add_co_u32 v24, s0, v0, v24
	v_add_co_ci_u32_e64 v25, s0, v1, v25, s0
	v_add_co_u32 v39, s0, v0, v26
	v_add_co_ci_u32_e64 v40, s0, v1, v27, s0
	s_clause 0x6
	global_load_dword v34, v[3:4], off
	global_load_dword v36, v[21:22], off
	global_load_dword v32, v[37:38], off
	global_load_dword v27, v[5:6], off
	global_load_dword v29, v[12:13], off
	global_load_dword v30, v[24:25], off
	global_load_dword v37, v[39:40], off
                                        ; implicit-def: $vgpr21
                                        ; implicit-def: $vgpr4
                                        ; implicit-def: $vgpr7
                                        ; implicit-def: $vgpr6
                                        ; implicit-def: $vgpr12
                                        ; implicit-def: $vgpr5
                                        ; implicit-def: $vgpr22
                                        ; implicit-def: $vgpr3
                                        ; implicit-def: $vgpr13
                                        ; implicit-def: $vgpr14
	v_cmpx_gt_u32_e32 25, v8
	s_cbranch_execz .LBB0_14
; %bb.13:
	v_add_nc_u32_e32 v7, 0x177, v8
	v_add_nc_u32_e32 v14, 0x307, v8
	;; [unrolled: 1-line block ×5, first 2 shown]
	v_mad_u64_u32 v[3:4], null, s20, v7, 0
	v_mad_u64_u32 v[5:6], null, s20, v14, 0
	;; [unrolled: 1-line block ×6, first 2 shown]
	v_mov_b32_e32 v4, v13
	v_mad_u64_u32 v[6:7], null, s21, v14, v[6:7]
	v_mov_b32_e32 v7, v22
	v_mad_u64_u32 v[13:14], null, s21, v35, v[4:5]
	v_mov_b32_e32 v4, v24
	v_mov_b32_e32 v14, v26
	v_mad_u64_u32 v[38:39], null, s21, v38, v[7:8]
	v_lshlrev_b64 v[5:6], 2, v[5:6]
	v_lshlrev_b64 v[3:4], 2, v[3:4]
	v_mad_u64_u32 v[39:40], null, s21, v40, v[14:15]
	v_lshlrev_b64 v[12:13], 2, v[12:13]
	v_mov_b32_e32 v22, v38
	v_add_co_u32 v3, s0, v0, v3
	v_add_co_ci_u32_e64 v4, s0, v1, v4, s0
	v_add_co_u32 v5, s0, v0, v5
	v_mov_b32_e32 v26, v39
	v_add_co_ci_u32_e64 v6, s0, v1, v6, s0
	v_lshlrev_b64 v[21:22], 2, v[21:22]
	v_add_co_u32 v38, s0, v0, v12
	v_add_co_ci_u32_e64 v39, s0, v1, v13, s0
	v_lshlrev_b64 v[12:13], 2, v[25:26]
	v_add_co_u32 v24, s0, v0, v21
	v_add_co_ci_u32_e64 v25, s0, v1, v22, s0
	v_add_co_u32 v0, s0, v0, v12
	v_add_co_ci_u32_e64 v1, s0, v1, v13, s0
	s_clause 0x4
	global_load_dword v13, v[3:4], off
	global_load_dword v21, v[5:6], off
	;; [unrolled: 1-line block ×5, first 2 shown]
	s_waitcnt vmcnt(4)
	v_lshrrev_b32_e32 v14, 16, v13
	s_waitcnt vmcnt(3)
	v_lshrrev_b32_e32 v4, 16, v21
	;; [unrolled: 2-line block ×5, first 2 shown]
.LBB0_14:
	s_or_b32 exec_lo, exec_lo, s6
	s_waitcnt vmcnt(14)
	v_lshrrev_b32_e32 v49, 16, v11
	s_waitcnt vmcnt(9)
	v_lshrrev_b32_e32 v35, 16, v20
	;; [unrolled: 2-line block ×3, first 2 shown]
	s_waitcnt vmcnt(2)
	v_perm_b32 v24, v29, v27, 0x7060302
	s_waitcnt vmcnt(0)
	v_perm_b32 v25, v30, v37, 0x7060302
	v_perm_b32 v29, v29, v27, 0x5040100
	;; [unrolled: 1-line block ×11, first 2 shown]
	v_mov_b32_e32 v19, v8
.LBB0_15:
	s_or_b32 exec_lo, exec_lo, s1
	v_add_f16_e32 v1, v51, v20
	v_add_f16_e32 v2, v29, v32
	;; [unrolled: 1-line block ×3, first 2 shown]
	v_pk_add_f16 v36, v54, v55
	v_pk_add_f16 v37, v53, v50 neg_lo:[0,1] neg_hi:[0,1]
	v_add_f16_sdwa v1, v1, v51 dst_sel:DWORD dst_unused:UNUSED_PAD src0_sel:DWORD src1_sel:WORD_1
	v_add_f16_sdwa v2, v2, v29 dst_sel:DWORD dst_unused:UNUSED_PAD src0_sel:DWORD src1_sel:WORD_1
	v_add_f16_e32 v28, v13, v21
	v_add_f16_sdwa v0, v0, v54 dst_sel:DWORD dst_unused:UNUSED_PAD src0_sel:DWORD src1_sel:WORD_1
	v_add_f16_e32 v23, v12, v7
	v_add_f16_sdwa v1, v1, v52 dst_sel:DWORD dst_unused:UNUSED_PAD src0_sel:DWORD src1_sel:WORD_1
	v_add_f16_sdwa v2, v2, v30 dst_sel:DWORD dst_unused:UNUSED_PAD src0_sel:DWORD src1_sel:WORD_1
	v_pk_fma_f16 v36, v36, 0.5, v11 op_sel_hi:[1,0,0] neg_lo:[1,0,0] neg_hi:[1,0,0]
	v_pk_mul_f16 v40, 0x3b9c, v37 op_sel_hi:[0,1]
	v_add_f16_sdwa v0, v0, v55 dst_sel:DWORD dst_unused:UNUSED_PAD src0_sel:DWORD src1_sel:WORD_1
	v_add_f16_e32 v38, v1, v52
	v_add_f16_e32 v39, v2, v30
	v_sub_f16_e32 v1, v21, v7
	v_sub_f16_e32 v2, v22, v12
	v_add_f16_e32 v31, v7, v28
	v_sub_f16_e32 v33, v4, v3
	v_fma_f16 v23, -0.5, v23, v13
	v_add_f16_e32 v34, v0, v55
	v_add_f16_e32 v1, v2, v1
	;; [unrolled: 1-line block ×3, first 2 shown]
	v_sub_f16_e32 v0, v6, v5
	v_add_f16_e32 v31, v12, v31
	v_fmamk_f16 v28, v33, 0x3b9c, v23
	v_fmac_f16_e32 v23, 0xbb9c, v33
	v_fmac_f16_e32 v13, -0.5, v2
	v_pk_add_f16 v2, v36, v40 op_sel:[0,1] op_sel_hi:[1,0]
	v_pk_add_f16 v36, v36, v40 op_sel:[0,1] op_sel_hi:[1,0] neg_lo:[0,1] neg_hi:[0,1]
	v_pk_add_f16 v41, v54, v54 op_sel:[1,0] op_sel_hi:[0,1] neg_lo:[0,1] neg_hi:[0,1]
	;; [unrolled: 1-line block ×3, first 2 shown]
	v_add_f16_e32 v11, v22, v31
	v_fmamk_f16 v31, v0, 0xbb9c, v13
	v_bfi_b32 v43, 0xffff, v36, v2
	v_sub_f16_e32 v40, v7, v21
	v_sub_f16_e32 v44, v12, v22
	v_fmac_f16_e32 v13, 0x3b9c, v0
	v_fmac_f16_e32 v28, 0x38b4, v0
	;; [unrolled: 1-line block ×3, first 2 shown]
	v_pk_add_f16 v41, v41, v42
	v_pk_fma_f16 v0, 0x38b4, v37, v43 op_sel_hi:[0,1,1]
	v_bfi_b32 v2, 0xffff, v2, v36
	v_fmac_f16_e32 v31, 0x38b4, v33
	v_add_f16_e32 v40, v44, v40
	v_fmac_f16_e32 v13, 0xb8b4, v33
	v_fmac_f16_e32 v28, 0x34f2, v1
	;; [unrolled: 1-line block ×3, first 2 shown]
	v_pk_fma_f16 v1, 0x34f2, v41, v0 op_sel_hi:[0,1,1]
	v_pk_fma_f16 v2, 0x38b4, v37, v2 op_sel_hi:[0,1,1] neg_lo:[0,1,0] neg_hi:[0,1,0]
	v_pk_add_f16 v33, v51, v52
	v_pk_add_f16 v36, v48, v27 neg_lo:[0,1] neg_hi:[0,1]
	v_fmac_f16_e32 v31, 0x34f2, v40
	v_fmac_f16_e32 v13, 0x34f2, v40
	v_mad_u32_u24 v0, v8, 10, 0
	v_pk_add_f16 v37, v29, v30
	v_pk_add_f16 v40, v24, v25 neg_lo:[0,1] neg_hi:[0,1]
	v_alignbit_b32 v1, v1, v1, 16
	v_pk_fma_f16 v2, 0x34f2, v41, v2 op_sel_hi:[0,1,1]
	v_pk_fma_f16 v20, v33, 0.5, v20 op_sel_hi:[1,0,0] neg_lo:[1,0,0] neg_hi:[1,0,0]
	v_pk_mul_f16 v33, 0x3b9c, v36 op_sel_hi:[0,1]
	ds_write_b16 v0, v34
	v_pk_fma_f16 v32, v37, 0.5, v32 op_sel_hi:[1,0,0] neg_lo:[1,0,0] neg_hi:[1,0,0]
	v_pk_mul_f16 v34, 0x3b9c, v40 op_sel_hi:[0,1]
	ds_write_b64 v0, v[1:2] offset:2
	v_pk_add_f16 v1, v20, v33 op_sel:[0,1] op_sel_hi:[1,0]
	v_pk_add_f16 v2, v20, v33 op_sel:[0,1] op_sel_hi:[1,0] neg_lo:[0,1] neg_hi:[0,1]
	v_pk_add_f16 v20, v51, v51 op_sel:[1,0] op_sel_hi:[0,1] neg_lo:[0,1] neg_hi:[0,1]
	v_pk_add_f16 v33, v32, v34 op_sel:[0,1] op_sel_hi:[1,0]
	v_pk_add_f16 v32, v32, v34 op_sel:[0,1] op_sel_hi:[1,0] neg_lo:[0,1] neg_hi:[0,1]
	v_pk_add_f16 v34, v52, v52 op_sel:[1,0] op_sel_hi:[0,1] neg_lo:[0,1] neg_hi:[0,1]
	v_bfi_b32 v37, 0xffff, v2, v1
	v_pk_add_f16 v41, v29, v29 op_sel:[1,0] op_sel_hi:[0,1] neg_lo:[0,1] neg_hi:[0,1]
	v_pk_add_f16 v42, v30, v30 op_sel:[1,0] op_sel_hi:[0,1] neg_lo:[0,1] neg_hi:[0,1]
	v_bfi_b32 v43, 0xffff, v32, v33
	v_pk_add_f16 v20, v20, v34
	v_pk_fma_f16 v34, 0x38b4, v36, v37 op_sel_hi:[0,1,1]
	v_bfi_b32 v1, 0xffff, v1, v2
	v_pk_add_f16 v37, v41, v42
	v_pk_fma_f16 v41, 0x38b4, v40, v43 op_sel_hi:[0,1,1]
	v_bfi_b32 v32, 0xffff, v33, v32
	v_pk_fma_f16 v33, 0x34f2, v20, v34 op_sel_hi:[0,1,1]
	v_pk_fma_f16 v1, 0x38b4, v36, v1 op_sel_hi:[0,1,1] neg_lo:[0,1,0] neg_hi:[0,1,0]
	v_mad_i32_i24 v2, v9, 10, 0
	v_pk_fma_f16 v34, 0x34f2, v37, v41 op_sel_hi:[0,1,1]
	v_pk_fma_f16 v40, 0x38b4, v40, v32 op_sel_hi:[0,1,1] neg_lo:[0,1,0] neg_hi:[0,1,0]
	v_alignbit_b32 v32, v33, v33, 16
	v_pk_fma_f16 v33, 0x34f2, v20, v1 op_sel_hi:[0,1,1]
	v_mad_i32_i24 v1, v10, 10, 0
	v_cmp_gt_u32_e64 s0, 25, v8
	v_alignbit_b32 v36, v34, v34, 16
	v_pk_fma_f16 v37, 0x34f2, v37, v40 op_sel_hi:[0,1,1]
	ds_write_b16 v2, v38
	ds_write_b64 v2, v[32:33] offset:2
	ds_write_b16 v1, v39
	ds_write_b64 v1, v[36:37] offset:2
	s_and_saveexec_b32 s1, s0
	s_cbranch_execz .LBB0_17
; %bb.16:
	v_perm_b32 v33, v13, v31, 0x5040100
	v_perm_b32 v32, v28, v11, 0x5040100
	ds_write_b64 v0, v[32:33] offset:3750
	ds_write_b16 v0, v23 offset:3758
.LBB0_17:
	s_or_b32 exec_lo, exec_lo, s1
	v_lshlrev_b32_e32 v20, 3, v8
	v_lshlrev_b32_e32 v56, 3, v9
	;; [unrolled: 1-line block ×3, first 2 shown]
	s_waitcnt lgkmcnt(0)
	s_barrier
	v_sub_nc_u32_e32 v20, v0, v20
	v_sub_nc_u32_e32 v34, v2, v56
	;; [unrolled: 1-line block ×3, first 2 shown]
	buffer_gl0_inv
	ds_read_u16 v33, v20
	ds_read_u16 v45, v20 offset:800
	ds_read_u16 v41, v20 offset:1050
	;; [unrolled: 1-line block ×5, first 2 shown]
	ds_read_u16 v32, v32
	ds_read_u16 v44, v20 offset:2400
	ds_read_u16 v37, v20 offset:2100
	;; [unrolled: 1-line block ×4, first 2 shown]
	ds_read_u16 v34, v34
	ds_read_u16 v39, v20 offset:3700
	ds_read_u16 v46, v20 offset:3200
	;; [unrolled: 1-line block ×3, first 2 shown]
	s_and_saveexec_b32 s1, s0
	s_cbranch_execz .LBB0_19
; %bb.18:
	ds_read_u16 v11, v20 offset:750
	ds_read_u16 v28, v20 offset:1550
	;; [unrolled: 1-line block ×5, first 2 shown]
.LBB0_19:
	s_or_b32 exec_lo, exec_lo, s1
	v_pk_add_f16 v59, v53, v50
	v_pk_add_f16 v54, v54, v55 neg_lo:[0,1] neg_hi:[0,1]
	v_sub_nc_u32_e32 v57, 0, v56
	v_sub_nc_u32_e32 v56, 0, v58
	v_pk_add_f16 v58, v53, v53 op_sel:[0,1] op_sel_hi:[1,0] neg_lo:[0,1] neg_hi:[0,1]
	v_pk_fma_f16 v55, v59, 0.5, v49 op_sel_hi:[1,0,0] neg_lo:[1,0,0] neg_hi:[1,0,0]
	v_add_f16_e32 v49, v53, v49
	v_pk_add_f16 v59, v50, v50 op_sel:[0,1] op_sel_hi:[1,0] neg_lo:[0,1] neg_hi:[0,1]
	v_add_f16_e32 v60, v48, v35
	v_pk_add_f16 v52, v51, v52 neg_lo:[0,1] neg_hi:[0,1]
	v_pk_fma_f16 v61, 0x3b9c, v54, v55 op_sel:[0,0,1] op_sel_hi:[0,1,0] neg_lo:[0,1,0] neg_hi:[0,1,0]
	v_pk_fma_f16 v55, 0x3b9c, v54, v55 op_sel:[0,0,1] op_sel_hi:[0,1,0]
	v_pk_add_f16 v51, v48, v27
	v_add_f16_sdwa v49, v49, v53 dst_sel:DWORD dst_unused:UNUSED_PAD src0_sel:DWORD src1_sel:WORD_1
	v_pk_mul_f16 v53, 0x38b4, v54 op_sel_hi:[0,1]
	v_pk_add_f16 v58, v58, v59
	v_bfi_b32 v54, 0xffff, v61, v55
	v_bfi_b32 v55, 0xffff, v55, v61
	v_pk_fma_f16 v35, v51, 0.5, v35 op_sel_hi:[1,0,0] neg_lo:[1,0,0] neg_hi:[1,0,0]
	v_add_f16_sdwa v49, v49, v50 dst_sel:DWORD dst_unused:UNUSED_PAD src0_sel:DWORD src1_sel:WORD_1
	v_pk_add_f16 v29, v29, v30 neg_lo:[0,1] neg_hi:[0,1]
	v_pk_add_f16 v51, v54, v53 op_sel:[0,1] op_sel_hi:[1,0] neg_lo:[0,1] neg_hi:[0,1]
	v_pk_add_f16 v53, v53, v55 op_sel:[1,0] op_sel_hi:[0,1]
	v_add_f16_sdwa v54, v60, v48 dst_sel:DWORD dst_unused:UNUSED_PAD src0_sel:DWORD src1_sel:WORD_1
	v_pk_fma_f16 v55, 0x3b9c, v52, v35 op_sel:[0,0,1] op_sel_hi:[0,1,0] neg_lo:[0,1,0] neg_hi:[0,1,0]
	v_pk_fma_f16 v35, 0x3b9c, v52, v35 op_sel:[0,0,1] op_sel_hi:[0,1,0]
	v_add_f16_e32 v59, v49, v50
	v_pk_fma_f16 v51, 0x34f2, v58, v51 op_sel_hi:[0,1,1]
	v_pk_fma_f16 v53, 0x34f2, v58, v53 op_sel_hi:[0,1,1]
	v_add_f16_sdwa v49, v54, v27 dst_sel:DWORD dst_unused:UNUSED_PAD src0_sel:DWORD src1_sel:WORD_1
	v_add_f16_e32 v54, v24, v26
	v_pk_add_f16 v58, v24, v25
	v_bfi_b32 v50, 0xffff, v55, v35
	v_pk_mul_f16 v52, 0x38b4, v52 op_sel_hi:[0,1]
	v_pk_add_f16 v48, v48, v48 op_sel:[0,1] op_sel_hi:[1,0] neg_lo:[0,1] neg_hi:[0,1]
	v_pk_add_f16 v60, v27, v27 op_sel:[0,1] op_sel_hi:[1,0] neg_lo:[0,1] neg_hi:[0,1]
	v_bfi_b32 v35, 0xffff, v35, v55
	v_add_f16_sdwa v54, v54, v24 dst_sel:DWORD dst_unused:UNUSED_PAD src0_sel:DWORD src1_sel:WORD_1
	v_pk_fma_f16 v26, v58, 0.5, v26 op_sel_hi:[1,0,0] neg_lo:[1,0,0] neg_hi:[1,0,0]
	v_pk_add_f16 v30, v50, v52 op_sel:[0,1] op_sel_hi:[1,0] neg_lo:[0,1] neg_hi:[0,1]
	v_pk_add_f16 v48, v48, v60
	v_pk_add_f16 v35, v52, v35 op_sel:[1,0] op_sel_hi:[0,1]
	v_add_f16_sdwa v50, v54, v25 dst_sel:DWORD dst_unused:UNUSED_PAD src0_sel:DWORD src1_sel:WORD_1
	v_pk_fma_f16 v52, 0x3b9c, v29, v26 op_sel:[0,0,1] op_sel_hi:[0,1,0] neg_lo:[0,1,0] neg_hi:[0,1,0]
	v_pk_fma_f16 v54, 0x3b9c, v29, v26 op_sel:[0,0,1] op_sel_hi:[0,1,0]
	v_add_f16_e32 v55, v49, v27
	v_pk_fma_f16 v27, 0x34f2, v48, v35 op_sel_hi:[0,1,1]
	v_pk_mul_f16 v29, 0x38b4, v29 op_sel_hi:[0,1]
	v_pk_fma_f16 v26, 0x34f2, v48, v30 op_sel_hi:[0,1,1]
	v_bfi_b32 v35, 0xffff, v52, v54
	v_add_f16_e32 v30, v50, v25
	v_add_f16_e32 v48, v5, v6
	v_pk_add_f16 v24, v24, v24 op_sel:[0,1] op_sel_hi:[1,0] neg_lo:[0,1] neg_hi:[0,1]
	v_pk_add_f16 v25, v25, v25 op_sel:[0,1] op_sel_hi:[1,0] neg_lo:[0,1] neg_hi:[0,1]
	v_bfi_b32 v49, 0xffff, v54, v52
	v_add_f16_e32 v50, v14, v4
	v_sub_f16_e32 v22, v21, v22
	v_pk_add_f16 v21, v35, v29 op_sel:[0,1] op_sel_hi:[1,0] neg_lo:[0,1] neg_hi:[0,1]
	v_add_f16_e32 v35, v3, v4
	v_fma_f16 v48, -0.5, v48, v14
	v_pk_add_f16 v24, v24, v25
	v_pk_add_f16 v25, v29, v49 op_sel:[1,0] op_sel_hi:[0,1]
	v_add_f16_e32 v29, v6, v50
	v_sub_f16_e32 v7, v7, v12
	v_fmac_f16_e32 v14, -0.5, v35
	v_fmamk_f16 v49, v22, 0xbb9c, v48
	v_pk_fma_f16 v21, 0x34f2, v24, v21 op_sel_hi:[0,1,1]
	v_pk_fma_f16 v24, 0x34f2, v24, v25 op_sel_hi:[0,1,1]
	v_add_f16_e32 v12, v5, v29
	v_sub_f16_e32 v25, v4, v6
	v_sub_f16_e32 v29, v3, v5
	v_fmac_f16_e32 v48, 0x3b9c, v22
	v_fmamk_f16 v50, v7, 0x3b9c, v14
	v_sub_f16_e32 v4, v6, v4
	v_sub_f16_e32 v5, v5, v3
	v_fmac_f16_e32 v14, 0xbb9c, v7
	v_fmac_f16_e32 v49, 0xb8b4, v7
	v_add_f16_e32 v6, v29, v25
	v_fmac_f16_e32 v48, 0x38b4, v7
	v_fmac_f16_e32 v50, 0xb8b4, v22
	v_add_f16_e32 v4, v5, v4
	v_fmac_f16_e32 v14, 0x38b4, v22
	v_add_f16_e32 v12, v3, v12
	v_fmac_f16_e32 v49, 0x34f2, v6
	v_fmac_f16_e32 v48, 0x34f2, v6
	;; [unrolled: 1-line block ×4, first 2 shown]
	v_alignbit_b32 v52, v53, v53, 16
	v_alignbit_b32 v27, v27, v27, 16
	;; [unrolled: 1-line block ×3, first 2 shown]
	s_waitcnt lgkmcnt(0)
	s_barrier
	buffer_gl0_inv
	ds_write_b16 v0, v59
	ds_write_b64 v0, v[51:52] offset:2
	ds_write_b16 v2, v55
	ds_write_b64 v2, v[26:27] offset:2
	;; [unrolled: 2-line block ×3, first 2 shown]
	s_and_saveexec_b32 s1, s0
	s_cbranch_execz .LBB0_21
; %bb.20:
	v_perm_b32 v4, v14, v50, 0x5040100
	v_perm_b32 v3, v49, v12, 0x5040100
	ds_write_b64 v0, v[3:4] offset:3750
	ds_write_b16 v0, v48 offset:3758
.LBB0_21:
	s_or_b32 exec_lo, exec_lo, s1
	s_waitcnt lgkmcnt(0)
	s_barrier
	buffer_gl0_inv
	v_add_nc_u32_e32 v21, v2, v57
	v_add_nc_u32_e32 v22, v1, v56
	ds_read_u16 v29, v20
	ds_read_u16 v60, v20 offset:800
	ds_read_u16 v56, v20 offset:1050
	;; [unrolled: 1-line block ×5, first 2 shown]
	ds_read_u16 v27, v22
	ds_read_u16 v59, v20 offset:2400
	ds_read_u16 v52, v20 offset:2100
	ds_read_u16 v61, v20 offset:1600
	ds_read_u16 v57, v20 offset:1300
	ds_read_u16 v30, v21
	ds_read_u16 v54, v20 offset:3700
	ds_read_u16 v62, v20 offset:3200
	;; [unrolled: 1-line block ×3, first 2 shown]
	s_and_saveexec_b32 s1, s0
	s_cbranch_execz .LBB0_23
; %bb.22:
	ds_read_u16 v12, v20 offset:750
	ds_read_u16 v49, v20 offset:1550
	;; [unrolled: 1-line block ×5, first 2 shown]
.LBB0_23:
	s_or_b32 exec_lo, exec_lo, s1
	v_and_b32_e32 v24, 0xff, v8
	v_and_b32_e32 v25, 0xff, v9
	v_mov_b32_e32 v2, 0xcccd
	v_add_nc_u32_e32 v26, 0x177, v8
	v_mov_b32_e32 v65, 4
	v_mul_lo_u16 v0, 0xcd, v24
	v_mul_u32_u24_sdwa v4, v26, v2 dst_sel:DWORD dst_unused:UNUSED_PAD src0_sel:WORD_0 src1_sel:DWORD
	v_lshrrev_b16 v63, 10, v0
	v_mul_lo_u16 v0, 0xcd, v25
	v_lshrrev_b32_e32 v70, 18, v4
	v_mul_lo_u16 v1, v63, 5
	v_lshrrev_b16 v64, 10, v0
	v_mul_u32_u24_sdwa v0, v10, v2 dst_sel:DWORD dst_unused:UNUSED_PAD src0_sel:WORD_0 src1_sel:DWORD
	v_mul_lo_u16 v35, v70, 5
	v_sub_nc_u16 v66, v8, v1
	v_mul_lo_u16 v1, v64, 5
	v_lshrrev_b32_e32 v68, 18, v0
	v_sub_nc_u16 v35, v26, v35
	v_lshlrev_b32_sdwa v3, v65, v66 dst_sel:DWORD dst_unused:UNUSED_PAD src0_sel:DWORD src1_sel:BYTE_0
	v_sub_nc_u16 v69, v9, v1
	v_mul_lo_u16 v5, v68, 5
	v_mul_u32_u24_e32 v68, 50, v68
	global_load_dwordx4 v[0:3], v3, s[12:13]
	v_lshlrev_b32_sdwa v6, v65, v69 dst_sel:DWORD dst_unused:UNUSED_PAD src0_sel:DWORD src1_sel:BYTE_0
	v_sub_nc_u16 v71, v10, v5
	global_load_dwordx4 v[4:7], v6, s[12:13]
	v_lshlrev_b32_sdwa v67, v65, v71 dst_sel:DWORD dst_unused:UNUSED_PAD src0_sel:DWORD src1_sel:WORD_0
	v_lshlrev_b32_sdwa v65, v65, v35 dst_sel:DWORD dst_unused:UNUSED_PAD src0_sel:DWORD src1_sel:WORD_0
	s_clause 0x1
	global_load_dwordx4 v[85:88], v67, s[12:13]
	global_load_dwordx4 v[89:92], v65, s[12:13]
	v_mov_b32_e32 v65, 50
	v_mov_b32_e32 v67, 1
	s_waitcnt vmcnt(0) lgkmcnt(0)
	s_barrier
	buffer_gl0_inv
	v_mul_u32_u24_sdwa v72, v63, v65 dst_sel:DWORD dst_unused:UNUSED_PAD src0_sel:WORD_0 src1_sel:DWORD
	v_mul_u32_u24_sdwa v64, v64, v65 dst_sel:DWORD dst_unused:UNUSED_PAD src0_sel:WORD_0 src1_sel:DWORD
	v_lshlrev_b32_sdwa v65, v67, v66 dst_sel:DWORD dst_unused:UNUSED_PAD src0_sel:DWORD src1_sel:BYTE_0
	v_lshlrev_b32_sdwa v69, v67, v69 dst_sel:DWORD dst_unused:UNUSED_PAD src0_sel:DWORD src1_sel:BYTE_0
	v_lshlrev_b32_sdwa v71, v67, v71 dst_sel:DWORD dst_unused:UNUSED_PAD src0_sel:DWORD src1_sel:WORD_0
	v_mul_lo_u16 v63, v70, 25
	v_add3_u32 v66, 0, v72, v65
	v_add3_u32 v65, 0, v64, v69
	;; [unrolled: 1-line block ×3, first 2 shown]
	v_mul_f16_sdwa v82, v60, v0 dst_sel:DWORD dst_unused:UNUSED_PAD src0_sel:DWORD src1_sel:WORD_1
	v_mul_f16_sdwa v80, v45, v0 dst_sel:DWORD dst_unused:UNUSED_PAD src0_sel:DWORD src1_sel:WORD_1
	;; [unrolled: 1-line block ×5, first 2 shown]
	v_fma_f16 v82, v45, v0, -v82
	v_fmac_f16_e32 v80, v60, v0
	v_mul_f16_sdwa v93, v62, v3 dst_sel:DWORD dst_unused:UNUSED_PAD src0_sel:DWORD src1_sel:WORD_1
	v_mul_f16_sdwa v78, v44, v2 dst_sel:DWORD dst_unused:UNUSED_PAD src0_sel:DWORD src1_sel:WORD_1
	;; [unrolled: 1-line block ×23, first 2 shown]
	v_fma_f16 v83, v47, v1, -v83
	v_fmac_f16_e32 v81, v61, v1
	v_mul_f16_sdwa v1, v23, v92 dst_sel:DWORD dst_unused:UNUSED_PAD src0_sel:DWORD src1_sel:WORD_1
	v_fma_f16 v61, v44, v2, -v84
	v_fma_f16 v44, v28, v89, -v102
	;; [unrolled: 1-line block ×4, first 2 shown]
	v_fmac_f16_e32 v60, v14, v91
	v_fma_f16 v14, v23, v92, -v0
	v_fma_f16 v84, v46, v3, -v93
	v_mul_f16_sdwa v70, v42, v85 dst_sel:DWORD dst_unused:UNUSED_PAD src0_sel:DWORD src1_sel:WORD_1
	v_mul_f16_sdwa v71, v37, v86 dst_sel:DWORD dst_unused:UNUSED_PAD src0_sel:DWORD src1_sel:WORD_1
	;; [unrolled: 1-line block ×3, first 2 shown]
	v_fmac_f16_e32 v78, v59, v2
	v_fmac_f16_e32 v79, v62, v3
	v_fma_f16 v59, v41, v4, -v94
	v_fmac_f16_e32 v74, v56, v4
	v_fma_f16 v56, v40, v5, -v95
	;; [unrolled: 2-line block ×5, first 2 shown]
	v_fma_f16 v46, v37, v86, -v99
	v_fma_f16 v43, v43, v87, -v100
	v_fmac_f16_e32 v72, v58, v87
	v_fma_f16 v51, v39, v88, -v101
	v_fmac_f16_e32 v68, v49, v89
	v_fmac_f16_e32 v69, v50, v90
	;; [unrolled: 1-line block ×3, first 2 shown]
	v_add_f16_e32 v2, v83, v61
	v_add_f16_e32 v58, v45, v13
	;; [unrolled: 1-line block ×4, first 2 shown]
	v_fmac_f16_e32 v70, v57, v85
	v_fmac_f16_e32 v71, v52, v86
	;; [unrolled: 1-line block ×3, first 2 shown]
	v_add_f16_e32 v0, v33, v82
	v_sub_f16_e32 v3, v82, v83
	v_sub_f16_e32 v4, v84, v61
	;; [unrolled: 1-line block ×4, first 2 shown]
	v_add_f16_e32 v28, v56, v55
	v_sub_f16_e32 v31, v59, v56
	v_sub_f16_e32 v36, v53, v55
	v_add_f16_e32 v37, v59, v53
	v_sub_f16_e32 v40, v47, v46
	v_sub_f16_e32 v41, v51, v43
	v_add_f16_e32 v42, v46, v43
	v_add_f16_e32 v48, v47, v51
	;; [unrolled: 1-line block ×3, first 2 shown]
	v_sub_f16_e32 v94, v68, v1
	v_sub_f16_e32 v95, v69, v60
	v_fma_f16 v97, -0.5, v2, v33
	v_fma_f16 v2, -0.5, v58, v11
	v_fmac_f16_e32 v11, -0.5, v62
	v_sub_f16_e32 v88, v80, v79
	v_sub_f16_e32 v89, v81, v78
	v_fmac_f16_e32 v33, -0.5, v5
	v_add_f16_e32 v23, v34, v59
	v_sub_f16_e32 v38, v56, v59
	v_sub_f16_e32 v39, v55, v53
	v_add_f16_e32 v49, v32, v47
	v_sub_f16_e32 v50, v46, v47
	v_sub_f16_e32 v52, v43, v51
	v_sub_f16_e32 v54, v44, v45
	v_sub_f16_e32 v57, v14, v13
	v_sub_f16_e32 v86, v45, v44
	v_sub_f16_e32 v87, v13, v14
	v_sub_f16_e32 v90, v74, v77
	v_sub_f16_e32 v91, v75, v76
	v_sub_f16_e32 v92, v70, v73
	v_sub_f16_e32 v93, v71, v72
	v_add_f16_e32 v96, v3, v4
	v_add_f16_e32 v5, v6, v7
	;; [unrolled: 1-line block ×3, first 2 shown]
	v_fma_f16 v7, -0.5, v28, v34
	v_fmac_f16_e32 v34, -0.5, v37
	v_add_f16_e32 v31, v40, v41
	v_fma_f16 v36, -0.5, v42, v32
	v_fmac_f16_e32 v32, -0.5, v48
	v_add_f16_e32 v0, v0, v83
	v_add_f16_e32 v41, v85, v45
	v_fmamk_f16 v3, v94, 0x3b9c, v2
	v_fmac_f16_e32 v2, 0xbb9c, v94
	v_fmamk_f16 v4, v95, 0xbb9c, v11
	v_fmac_f16_e32 v11, 0x3b9c, v95
	v_fmamk_f16 v42, v88, 0x3b9c, v97
	v_fmamk_f16 v48, v89, 0xbb9c, v33
	v_fmac_f16_e32 v33, 0x3b9c, v89
	v_fmac_f16_e32 v97, 0xbb9c, v88
	v_add_f16_e32 v28, v38, v39
	v_add_f16_e32 v37, v50, v52
	;; [unrolled: 1-line block ×6, first 2 shown]
	v_fmamk_f16 v49, v90, 0x3b9c, v7
	v_fmac_f16_e32 v7, 0xbb9c, v90
	v_fmamk_f16 v50, v91, 0xbb9c, v34
	v_fmac_f16_e32 v34, 0x3b9c, v91
	;; [unrolled: 2-line block ×4, first 2 shown]
	v_add_f16_e32 v0, v0, v61
	v_add_f16_e32 v41, v41, v13
	v_fmac_f16_e32 v3, 0x38b4, v95
	v_fmac_f16_e32 v2, 0xb8b4, v95
	v_fmac_f16_e32 v4, 0x38b4, v94
	v_fmac_f16_e32 v11, 0xb8b4, v94
	v_fmac_f16_e32 v42, 0x38b4, v89
	v_fmac_f16_e32 v48, 0x38b4, v88
	v_fmac_f16_e32 v33, 0xb8b4, v88
	v_fmac_f16_e32 v97, 0xb8b4, v89
	v_add_f16_e32 v23, v23, v55
	v_add_f16_e32 v40, v40, v43
	v_fmac_f16_e32 v49, 0x38b4, v91
	v_fmac_f16_e32 v7, 0xb8b4, v91
	v_fmac_f16_e32 v50, 0x38b4, v90
	v_fmac_f16_e32 v34, 0xb8b4, v90
	v_fmac_f16_e32 v52, 0x38b4, v93
	v_fmac_f16_e32 v36, 0xb8b4, v93
	v_fmac_f16_e32 v54, 0x38b4, v92
	v_fmac_f16_e32 v32, 0xb8b4, v92
	v_add_f16_e32 v57, v0, v84
	v_add_f16_e32 v0, v41, v14
	v_fmac_f16_e32 v3, 0x34f2, v38
	v_fmac_f16_e32 v2, 0x34f2, v38
	v_fmac_f16_e32 v4, 0x34f2, v39
	v_fmac_f16_e32 v11, 0x34f2, v39
	v_fmac_f16_e32 v42, 0x34f2, v96
	v_fmac_f16_e32 v48, 0x34f2, v5
	v_fmac_f16_e32 v33, 0x34f2, v5
	v_fmac_f16_e32 v97, 0x34f2, v96
	v_add_f16_e32 v23, v23, v53
	v_add_f16_e32 v40, v40, v51
	v_fmac_f16_e32 v49, 0x34f2, v6
	v_fmac_f16_e32 v7, 0x34f2, v6
	v_fmac_f16_e32 v50, 0x34f2, v28
	v_fmac_f16_e32 v34, 0x34f2, v28
	v_fmac_f16_e32 v52, 0x34f2, v31
	v_fmac_f16_e32 v36, 0x34f2, v31
	v_fmac_f16_e32 v54, 0x34f2, v37
	v_fmac_f16_e32 v32, 0x34f2, v37
	ds_write_b16 v66, v57
	ds_write_b16 v66, v42 offset:10
	ds_write_b16 v66, v48 offset:20
	ds_write_b16 v66, v33 offset:30
	ds_write_b16 v66, v97 offset:40
	ds_write_b16 v65, v23
	ds_write_b16 v65, v49 offset:10
	ds_write_b16 v65, v50 offset:20
	ds_write_b16 v65, v34 offset:30
	ds_write_b16 v65, v7 offset:40
	;; [unrolled: 5-line block ×3, first 2 shown]
	s_and_saveexec_b32 s1, s0
	s_cbranch_execz .LBB0_25
; %bb.24:
	v_lshlrev_b32_sdwa v5, v67, v35 dst_sel:DWORD dst_unused:UNUSED_PAD src0_sel:DWORD src1_sel:WORD_0
	v_lshlrev_b32_sdwa v6, v67, v63 dst_sel:DWORD dst_unused:UNUSED_PAD src0_sel:DWORD src1_sel:WORD_0
	v_add3_u32 v5, 0, v5, v6
	ds_write_b16 v5, v0
	ds_write_b16 v5, v3 offset:10
	ds_write_b16 v5, v4 offset:20
	;; [unrolled: 1-line block ×4, first 2 shown]
.LBB0_25:
	s_or_b32 exec_lo, exec_lo, s1
	s_waitcnt lgkmcnt(0)
	s_barrier
	buffer_gl0_inv
	ds_read_u16 v6, v20
	ds_read_u16 v39, v20 offset:800
	ds_read_u16 v38, v20 offset:1050
	;; [unrolled: 1-line block ×5, first 2 shown]
	ds_read_u16 v5, v22
	ds_read_u16 v40, v20 offset:2400
	ds_read_u16 v28, v20 offset:2100
	;; [unrolled: 1-line block ×4, first 2 shown]
	ds_read_u16 v7, v21
	ds_read_u16 v31, v20 offset:3700
	ds_read_u16 v42, v20 offset:3200
	;; [unrolled: 1-line block ×3, first 2 shown]
	v_lshl_add_u32 v23, v8, 1, 0
	s_and_saveexec_b32 s1, s0
	s_cbranch_execz .LBB0_27
; %bb.26:
	ds_read_u16 v3, v20 offset:1550
	ds_read_u16 v4, v20 offset:2350
	;; [unrolled: 1-line block ×5, first 2 shown]
.LBB0_27:
	s_or_b32 exec_lo, exec_lo, s1
	v_add_f16_e32 v48, v81, v78
	v_add_f16_e32 v49, v29, v80
	v_sub_f16_e32 v50, v82, v84
	v_add_f16_e32 v58, v80, v79
	v_sub_f16_e32 v52, v83, v61
	v_fma_f16 v48, -0.5, v48, v29
	v_sub_f16_e32 v54, v80, v81
	v_sub_f16_e32 v57, v79, v78
	v_add_f16_e32 v49, v49, v81
	v_fmac_f16_e32 v29, -0.5, v58
	v_fmamk_f16 v62, v50, 0xbb9c, v48
	v_fmac_f16_e32 v48, 0x3b9c, v50
	v_sub_f16_e32 v61, v81, v80
	v_add_f16_e32 v54, v54, v57
	v_add_f16_e32 v49, v49, v78
	v_fmac_f16_e32 v62, 0xb8b4, v52
	v_sub_f16_e32 v57, v78, v79
	v_fmamk_f16 v58, v52, 0x3b9c, v29
	v_fmac_f16_e32 v48, 0x38b4, v52
	v_add_f16_e32 v67, v30, v74
	v_add_f16_e32 v78, v75, v76
	v_fmac_f16_e32 v29, 0xbb9c, v52
	v_fmac_f16_e32 v62, 0x34f2, v54
	;; [unrolled: 1-line block ×3, first 2 shown]
	v_add_f16_e32 v57, v61, v57
	v_add_f16_e32 v52, v67, v75
	v_fma_f16 v61, -0.5, v78, v30
	v_sub_f16_e32 v53, v59, v53
	v_fmac_f16_e32 v48, 0x34f2, v54
	v_fmac_f16_e32 v29, 0x38b4, v50
	v_add_f16_e32 v54, v74, v77
	v_sub_f16_e32 v55, v56, v55
	v_sub_f16_e32 v56, v74, v75
	;; [unrolled: 1-line block ×3, first 2 shown]
	v_fmac_f16_e32 v58, 0x34f2, v57
	v_add_f16_e32 v50, v52, v76
	v_fmamk_f16 v52, v53, 0xbb9c, v61
	v_fmac_f16_e32 v29, 0x34f2, v57
	v_fmac_f16_e32 v30, -0.5, v54
	v_add_f16_e32 v54, v56, v59
	v_fmac_f16_e32 v61, 0x3b9c, v53
	v_sub_f16_e32 v57, v75, v74
	v_sub_f16_e32 v59, v76, v77
	v_add_f16_e32 v67, v71, v72
	v_fmac_f16_e32 v52, 0xb8b4, v55
	v_fmamk_f16 v56, v55, 0x3b9c, v30
	v_fmac_f16_e32 v61, 0x38b4, v55
	v_add_f16_e32 v57, v57, v59
	v_fmac_f16_e32 v30, 0xbb9c, v55
	v_add_f16_e32 v55, v27, v70
	v_fma_f16 v59, -0.5, v67, v27
	v_sub_f16_e32 v47, v47, v51
	v_fmac_f16_e32 v52, 0x34f2, v54
	v_fmac_f16_e32 v56, 0xb8b4, v53
	;; [unrolled: 1-line block ×4, first 2 shown]
	v_add_f16_e32 v51, v55, v71
	v_fmamk_f16 v53, v47, 0xbb9c, v59
	v_sub_f16_e32 v43, v46, v43
	v_sub_f16_e32 v46, v70, v71
	;; [unrolled: 1-line block ×3, first 2 shown]
	v_fmac_f16_e32 v59, 0x3b9c, v47
	v_add_f16_e32 v55, v70, v73
	v_fmac_f16_e32 v56, 0x34f2, v57
	v_fmac_f16_e32 v53, 0xb8b4, v43
	v_add_f16_e32 v46, v46, v54
	v_fmac_f16_e32 v59, 0x38b4, v43
	v_fmac_f16_e32 v27, -0.5, v55
	v_fmac_f16_e32 v30, 0x34f2, v57
	v_add_f16_e32 v54, v69, v60
	v_sub_f16_e32 v55, v71, v70
	v_sub_f16_e32 v57, v72, v73
	v_fmac_f16_e32 v53, 0x34f2, v46
	v_fmac_f16_e32 v59, 0x34f2, v46
	v_fmamk_f16 v46, v43, 0x3b9c, v27
	v_fmac_f16_e32 v27, 0xbb9c, v43
	v_add_f16_e32 v67, v12, v68
	v_fma_f16 v43, -0.5, v54, v12
	v_add_f16_e32 v54, v55, v57
	v_add_f16_e32 v55, v68, v1
	v_sub_f16_e32 v14, v44, v14
	v_fmac_f16_e32 v46, 0xb8b4, v47
	v_fmac_f16_e32 v27, 0x38b4, v47
	v_add_f16_e32 v47, v67, v69
	v_sub_f16_e32 v13, v45, v13
	v_fmac_f16_e32 v12, -0.5, v55
	v_fmamk_f16 v44, v14, 0xbb9c, v43
	v_fmac_f16_e32 v46, 0x34f2, v54
	v_fmac_f16_e32 v27, 0x34f2, v54
	v_add_f16_e32 v47, v47, v60
	v_sub_f16_e32 v54, v68, v69
	v_sub_f16_e32 v55, v1, v60
	v_fmac_f16_e32 v43, 0x3b9c, v14
	v_fmamk_f16 v45, v13, 0x3b9c, v12
	v_sub_f16_e32 v57, v69, v68
	v_sub_f16_e32 v60, v60, v1
	v_fmac_f16_e32 v12, 0xbb9c, v13
	v_fmac_f16_e32 v44, 0xb8b4, v13
	v_add_f16_e32 v54, v54, v55
	v_fmac_f16_e32 v43, 0x38b4, v13
	v_fmac_f16_e32 v45, 0xb8b4, v14
	v_add_f16_e32 v13, v57, v60
	v_fmac_f16_e32 v12, 0x38b4, v14
	v_add_f16_e32 v49, v49, v79
	v_add_f16_e32 v51, v51, v72
	;; [unrolled: 1-line block ×3, first 2 shown]
	v_fmac_f16_e32 v44, 0x34f2, v54
	v_fmac_f16_e32 v43, 0x34f2, v54
	;; [unrolled: 1-line block ×4, first 2 shown]
	v_add_f16_e32 v50, v50, v77
	v_add_f16_e32 v51, v51, v73
	s_waitcnt lgkmcnt(0)
	s_barrier
	buffer_gl0_inv
	ds_write_b16 v66, v49
	ds_write_b16 v66, v62 offset:10
	ds_write_b16 v66, v58 offset:20
	ds_write_b16 v66, v29 offset:30
	ds_write_b16 v66, v48 offset:40
	ds_write_b16 v65, v50
	ds_write_b16 v65, v52 offset:10
	ds_write_b16 v65, v56 offset:20
	ds_write_b16 v65, v30 offset:30
	ds_write_b16 v65, v61 offset:40
	;; [unrolled: 5-line block ×3, first 2 shown]
	s_and_saveexec_b32 s1, s0
	s_cbranch_execz .LBB0_29
; %bb.28:
	v_mov_b32_e32 v13, 1
	v_lshlrev_b32_sdwa v14, v13, v35 dst_sel:DWORD dst_unused:UNUSED_PAD src0_sel:DWORD src1_sel:WORD_0
	v_lshlrev_b32_sdwa v13, v13, v63 dst_sel:DWORD dst_unused:UNUSED_PAD src0_sel:DWORD src1_sel:WORD_0
	v_add3_u32 v13, 0, v14, v13
	ds_write_b16 v13, v1
	ds_write_b16 v13, v44 offset:10
	ds_write_b16 v13, v45 offset:20
	;; [unrolled: 1-line block ×4, first 2 shown]
.LBB0_29:
	s_or_b32 exec_lo, exec_lo, s1
	s_waitcnt lgkmcnt(0)
	s_barrier
	buffer_gl0_inv
	ds_read_u16 v13, v20
	ds_read_u16 v53, v20 offset:800
	ds_read_u16 v52, v20 offset:1050
	;; [unrolled: 1-line block ×5, first 2 shown]
	ds_read_u16 v14, v22
	ds_read_u16 v54, v20 offset:2400
	ds_read_u16 v29, v20 offset:2100
	;; [unrolled: 1-line block ×4, first 2 shown]
	ds_read_u16 v27, v21
	ds_read_u16 v30, v20 offset:3700
	ds_read_u16 v56, v20 offset:3200
	;; [unrolled: 1-line block ×3, first 2 shown]
	s_and_saveexec_b32 s1, s0
	s_cbranch_execz .LBB0_31
; %bb.30:
	ds_read_u16 v44, v20 offset:1550
	ds_read_u16 v45, v20 offset:2350
	;; [unrolled: 1-line block ×5, first 2 shown]
.LBB0_31:
	s_or_b32 exec_lo, exec_lo, s1
	v_mul_lo_u16 v24, v24, 41
	v_mul_lo_u16 v25, v25, 41
	v_mov_b32_e32 v47, 4
	v_lshrrev_b16 v24, 10, v24
	v_lshrrev_b16 v25, 10, v25
	v_mul_lo_u16 v46, v24, 25
	v_mul_lo_u16 v57, v25, 25
	v_sub_nc_u16 v46, v8, v46
	v_sub_nc_u16 v9, v9, v57
	v_lshlrev_b32_sdwa v58, v47, v46 dst_sel:DWORD dst_unused:UNUSED_PAD src0_sel:DWORD src1_sel:BYTE_0
	v_lshlrev_b32_sdwa v57, v47, v9 dst_sel:DWORD dst_unused:UNUSED_PAD src0_sel:DWORD src1_sel:BYTE_0
	s_clause 0x1
	global_load_dwordx4 v[64:67], v58, s[12:13] offset:80
	global_load_dwordx4 v[68:71], v57, s[12:13] offset:80
	v_mov_b32_e32 v57, 0x47af
	v_mul_u32_u24_sdwa v58, v10, v57 dst_sel:DWORD dst_unused:UNUSED_PAD src0_sel:WORD_0 src1_sel:DWORD
	v_mul_u32_u24_sdwa v57, v26, v57 dst_sel:DWORD dst_unused:UNUSED_PAD src0_sel:WORD_0 src1_sel:DWORD
	v_lshrrev_b32_e32 v58, 16, v58
	v_lshrrev_b32_e32 v57, 16, v57
	v_sub_nc_u16 v59, v10, v58
	v_sub_nc_u16 v60, v26, v57
	v_lshrrev_b16 v59, 1, v59
	v_add_nc_u16 v58, v59, v58
	v_lshrrev_b16 v58, 4, v58
	v_mul_lo_u16 v59, v58, 25
	v_sub_nc_u16 v10, v10, v59
	v_lshrrev_b16 v59, 1, v60
	v_lshlrev_b32_sdwa v47, v47, v10 dst_sel:DWORD dst_unused:UNUSED_PAD src0_sel:DWORD src1_sel:WORD_0
	v_add_nc_u16 v57, v59, v57
	global_load_dwordx4 v[72:75], v47, s[12:13] offset:80
	v_lshrrev_b16 v47, 4, v57
	v_mov_b32_e32 v57, 1
	v_mul_lo_u16 v47, v47, 25
	v_lshlrev_b32_sdwa v46, v57, v46 dst_sel:DWORD dst_unused:UNUSED_PAD src0_sel:DWORD src1_sel:BYTE_0
	v_lshlrev_b32_sdwa v9, v57, v9 dst_sel:DWORD dst_unused:UNUSED_PAD src0_sel:DWORD src1_sel:BYTE_0
	v_lshlrev_b32_sdwa v10, v57, v10 dst_sel:DWORD dst_unused:UNUSED_PAD src0_sel:DWORD src1_sel:WORD_0
	v_sub_nc_u16 v26, v26, v47
	v_and_b32_e32 v26, 0xffff, v26
	v_lshlrev_b32_e32 v47, 4, v26
	global_load_dwordx4 v[76:79], v47, s[12:13] offset:80
	v_mov_b32_e32 v47, 0xfa
	s_waitcnt vmcnt(0) lgkmcnt(0)
	s_barrier
	buffer_gl0_inv
	v_mul_u32_u24_sdwa v24, v24, v47 dst_sel:DWORD dst_unused:UNUSED_PAD src0_sel:WORD_0 src1_sel:DWORD
	v_mul_u32_u24_sdwa v25, v25, v47 dst_sel:DWORD dst_unused:UNUSED_PAD src0_sel:WORD_0 src1_sel:DWORD
	;; [unrolled: 1-line block ×3, first 2 shown]
	v_add3_u32 v47, 0, v24, v46
	v_add3_u32 v46, 0, v25, v9
	v_lshl_add_u32 v9, v26, 1, 0
	v_add3_u32 v10, 0, v58, v10
	v_mul_f16_sdwa v26, v53, v64 dst_sel:DWORD dst_unused:UNUSED_PAD src0_sel:DWORD src1_sel:WORD_1
	v_mul_f16_sdwa v61, v39, v64 dst_sel:DWORD dst_unused:UNUSED_PAD src0_sel:DWORD src1_sel:WORD_1
	;; [unrolled: 1-line block ×13, first 2 shown]
	v_fma_f16 v63, v39, v64, -v26
	v_fmac_f16_e32 v61, v53, v64
	v_fma_f16 v53, v41, v65, -v80
	v_fmac_f16_e32 v62, v55, v65
	v_fma_f16 v55, v40, v66, -v81
	v_mul_f16_sdwa v58, v34, v71 dst_sel:DWORD dst_unused:UNUSED_PAD src0_sel:DWORD src1_sel:WORD_1
	v_fmac_f16_e32 v59, v54, v66
	v_fma_f16 v54, v42, v67, -v82
	v_mul_f16_sdwa v24, v38, v68 dst_sel:DWORD dst_unused:UNUSED_PAD src0_sel:DWORD src1_sel:WORD_1
	v_mul_f16_sdwa v25, v37, v69 dst_sel:DWORD dst_unused:UNUSED_PAD src0_sel:DWORD src1_sel:WORD_1
	v_fmac_f16_e32 v60, v56, v67
	v_fma_f16 v40, v38, v68, -v83
	v_fma_f16 v38, v37, v69, -v84
	;; [unrolled: 1-line block ×3, first 2 shown]
	v_fmac_f16_e32 v57, v50, v70
	v_fma_f16 v50, v34, v71, -v86
	v_add_f16_e32 v26, v6, v63
	v_add_f16_e32 v34, v53, v55
	v_fmac_f16_e32 v58, v49, v71
	v_add_f16_e32 v49, v63, v54
	v_fmac_f16_e32 v24, v52, v68
	v_fmac_f16_e32 v25, v51, v69
	v_sub_f16_e32 v41, v61, v60
	v_sub_f16_e32 v36, v63, v53
	v_sub_f16_e32 v37, v54, v55
	v_sub_f16_e32 v51, v53, v63
	v_sub_f16_e32 v52, v55, v54
	v_add_f16_e32 v56, v7, v40
	v_add_f16_e32 v64, v38, v39
	v_sub_f16_e32 v67, v40, v38
	v_sub_f16_e32 v68, v50, v39
	v_add_f16_e32 v69, v40, v50
	v_add_f16_e32 v26, v26, v53
	v_fma_f16 v80, -0.5, v34, v6
	v_sub_f16_e32 v42, v62, v59
	v_fmac_f16_e32 v6, -0.5, v49
	v_sub_f16_e32 v65, v24, v58
	v_sub_f16_e32 v66, v25, v57
	;; [unrolled: 1-line block ×4, first 2 shown]
	v_add_f16_e32 v81, v36, v37
	v_add_f16_e32 v51, v51, v52
	;; [unrolled: 1-line block ×3, first 2 shown]
	v_fma_f16 v52, -0.5, v64, v7
	v_add_f16_e32 v56, v67, v68
	v_fmac_f16_e32 v7, -0.5, v69
	v_add_f16_e32 v49, v26, v55
	v_fmamk_f16 v67, v41, 0x3b9c, v80
	v_mul_f16_sdwa v83, v29, v73 dst_sel:DWORD dst_unused:UNUSED_PAD src0_sel:DWORD src1_sel:WORD_1
	v_mul_f16_sdwa v36, v28, v73 dst_sel:DWORD dst_unused:UNUSED_PAD src0_sel:DWORD src1_sel:WORD_1
	;; [unrolled: 1-line block ×4, first 2 shown]
	v_fmamk_f16 v68, v42, 0xbb9c, v6
	v_mul_f16_sdwa v82, v35, v72 dst_sel:DWORD dst_unused:UNUSED_PAD src0_sel:DWORD src1_sel:WORD_1
	v_mul_f16_sdwa v37, v33, v74 dst_sel:DWORD dst_unused:UNUSED_PAD src0_sel:DWORD src1_sel:WORD_1
	;; [unrolled: 1-line block ×3, first 2 shown]
	v_fmac_f16_e32 v6, 0x3b9c, v42
	v_fmac_f16_e32 v80, 0xbb9c, v41
	v_add_f16_e32 v64, v70, v71
	v_add_f16_e32 v69, v34, v39
	v_fmamk_f16 v70, v65, 0x3b9c, v52
	v_fmac_f16_e32 v52, 0xbb9c, v65
	v_fmamk_f16 v71, v66, 0xbb9c, v7
	v_fmac_f16_e32 v7, 0x3b9c, v66
	v_mul_f16_sdwa v34, v32, v72 dst_sel:DWORD dst_unused:UNUSED_PAD src0_sel:DWORD src1_sel:WORD_1
	v_fmac_f16_e32 v67, 0x38b4, v42
	v_fma_f16 v28, v28, v73, -v83
	v_fmac_f16_e32 v36, v29, v73
	v_fma_f16 v29, v33, v74, -v84
	v_fmac_f16_e32 v26, v30, v75
	v_mul_f16_sdwa v30, v44, v76 dst_sel:DWORD dst_unused:UNUSED_PAD src0_sel:DWORD src1_sel:WORD_1
	v_fmac_f16_e32 v68, 0x38b4, v41
	v_fma_f16 v32, v32, v72, -v82
	v_fmac_f16_e32 v37, v48, v74
	v_fma_f16 v31, v31, v75, -v85
	v_mul_f16_sdwa v48, v4, v77 dst_sel:DWORD dst_unused:UNUSED_PAD src0_sel:DWORD src1_sel:WORD_1
	v_fmac_f16_e32 v6, 0xb8b4, v41
	v_fmac_f16_e32 v80, 0xb8b4, v42
	v_add_f16_e32 v86, v49, v54
	v_mul_f16_sdwa v49, v11, v78 dst_sel:DWORD dst_unused:UNUSED_PAD src0_sel:DWORD src1_sel:WORD_1
	v_fmac_f16_e32 v70, 0x38b4, v66
	v_fmac_f16_e32 v52, 0xb8b4, v66
	;; [unrolled: 1-line block ×5, first 2 shown]
	v_mul_f16_sdwa v42, v3, v76 dst_sel:DWORD dst_unused:UNUSED_PAD src0_sel:DWORD src1_sel:WORD_1
	v_mul_f16_sdwa v33, v45, v77 dst_sel:DWORD dst_unused:UNUSED_PAD src0_sel:DWORD src1_sel:WORD_1
	;; [unrolled: 1-line block ×3, first 2 shown]
	v_fmac_f16_e32 v67, 0x34f2, v81
	v_fma_f16 v3, v3, v76, -v30
	v_add_f16_e32 v30, v28, v29
	v_mul_f16_sdwa v35, v12, v78 dst_sel:DWORD dst_unused:UNUSED_PAD src0_sel:DWORD src1_sel:WORD_1
	v_fmac_f16_e32 v68, 0x34f2, v51
	v_fmac_f16_e32 v48, v45, v77
	v_add_f16_e32 v45, v32, v31
	v_fmac_f16_e32 v6, 0x34f2, v51
	v_fmac_f16_e32 v80, 0x34f2, v81
	v_add_f16_e32 v69, v69, v50
	v_fmac_f16_e32 v49, v12, v78
	v_add_f16_e32 v12, v5, v32
	v_mul_f16_sdwa v65, v43, v79 dst_sel:DWORD dst_unused:UNUSED_PAD src0_sel:DWORD src1_sel:WORD_1
	v_fmac_f16_e32 v70, 0x34f2, v56
	v_fmac_f16_e32 v52, 0x34f2, v56
	v_fmac_f16_e32 v71, 0x34f2, v64
	v_fmac_f16_e32 v7, 0x34f2, v64
	ds_write_b16 v47, v86
	v_fmac_f16_e32 v42, v44, v76
	v_fma_f16 v4, v4, v77, -v33
	v_fmac_f16_e32 v41, v43, v79
	v_sub_f16_e32 v33, v34, v26
	v_sub_f16_e32 v43, v32, v28
	;; [unrolled: 1-line block ×3, first 2 shown]
	ds_write_b16 v47, v67 offset:50
	ds_write_b16 v47, v68 offset:100
	;; [unrolled: 1-line block ×4, first 2 shown]
	ds_write_b16 v46, v69
	ds_write_b16 v46, v70 offset:50
	ds_write_b16 v46, v71 offset:100
	;; [unrolled: 1-line block ×4, first 2 shown]
	v_fma_f16 v6, -0.5, v30, v5
	v_fma_f16 v11, v11, v78, -v35
	v_sub_f16_e32 v35, v36, v37
	v_fmac_f16_e32 v5, -0.5, v45
	v_add_f16_e32 v7, v12, v28
	v_add_f16_e32 v12, v43, v44
	v_fmamk_f16 v43, v33, 0x3b9c, v6
	v_sub_f16_e32 v51, v28, v32
	v_sub_f16_e32 v56, v29, v31
	v_fmamk_f16 v44, v35, 0xbb9c, v5
	v_fmac_f16_e32 v5, 0x3b9c, v35
	v_fmac_f16_e32 v6, 0xbb9c, v33
	v_add_f16_e32 v7, v7, v29
	v_fmac_f16_e32 v43, 0x38b4, v35
	v_add_f16_e32 v30, v51, v56
	v_fmac_f16_e32 v44, 0x38b4, v33
	v_fmac_f16_e32 v5, 0xb8b4, v33
	;; [unrolled: 1-line block ×3, first 2 shown]
	v_fma_f16 v2, v2, v79, -v65
	v_add_f16_e32 v7, v7, v31
	v_fmac_f16_e32 v43, 0x34f2, v12
	v_fmac_f16_e32 v44, 0x34f2, v30
	;; [unrolled: 1-line block ×4, first 2 shown]
	ds_write_b16 v10, v7
	ds_write_b16 v10, v43 offset:50
	ds_write_b16 v10, v44 offset:100
	ds_write_b16 v10, v5 offset:150
	ds_write_b16 v10, v6 offset:200
	s_and_saveexec_b32 s1, s0
	s_cbranch_execz .LBB0_33
; %bb.32:
	v_add_f16_e32 v5, v3, v2
	v_add_f16_e32 v7, v4, v11
	v_sub_f16_e32 v33, v42, v41
	v_sub_f16_e32 v30, v48, v49
	;; [unrolled: 1-line block ×3, first 2 shown]
	v_fma_f16 v5, -0.5, v5, v0
	v_fma_f16 v7, -0.5, v7, v0
	v_add_f16_e32 v0, v0, v3
	v_sub_f16_e32 v12, v11, v2
	v_sub_f16_e32 v35, v3, v4
	;; [unrolled: 1-line block ×3, first 2 shown]
	v_fmamk_f16 v45, v33, 0xbb9c, v7
	v_add_f16_e32 v0, v0, v4
	v_fmac_f16_e32 v7, 0x3b9c, v33
	v_fmamk_f16 v43, v30, 0x3b9c, v5
	v_fmac_f16_e32 v5, 0xbb9c, v30
	v_add_f16_e32 v6, v6, v12
	v_add_f16_e32 v0, v0, v11
	;; [unrolled: 1-line block ×3, first 2 shown]
	v_fmac_f16_e32 v7, 0x38b4, v30
	v_fmac_f16_e32 v5, 0x38b4, v33
	;; [unrolled: 1-line block ×4, first 2 shown]
	v_add_f16_e32 v0, v0, v2
	v_fmac_f16_e32 v7, 0x34f2, v12
	v_fmac_f16_e32 v5, 0x34f2, v6
	v_fmac_f16_e32 v43, 0x34f2, v6
	v_fmac_f16_e32 v45, 0x34f2, v12
	ds_write_b16 v9, v0 offset:3750
	ds_write_b16 v9, v7 offset:3800
	;; [unrolled: 1-line block ×5, first 2 shown]
.LBB0_33:
	s_or_b32 exec_lo, exec_lo, s1
	v_add_f16_e32 v0, v62, v59
	v_sub_f16_e32 v6, v63, v54
	v_sub_f16_e32 v7, v53, v55
	;; [unrolled: 1-line block ×4, first 2 shown]
	v_fma_f16 v0, -0.5, v0, v13
	v_add_f16_e32 v33, v61, v60
	v_add_f16_e32 v5, v13, v61
	v_sub_f16_e32 v35, v62, v61
	v_add_f16_e32 v12, v12, v30
	v_fmamk_f16 v43, v6, 0xbb9c, v0
	v_fmac_f16_e32 v0, 0x3b9c, v6
	v_fmac_f16_e32 v13, -0.5, v33
	v_add_f16_e32 v33, v25, v57
	v_sub_f16_e32 v30, v59, v60
	v_fmac_f16_e32 v43, 0xb8b4, v7
	v_fmac_f16_e32 v0, 0x38b4, v7
	v_fmamk_f16 v44, v7, 0x3b9c, v13
	v_fmac_f16_e32 v13, 0xbb9c, v7
	v_add_f16_e32 v7, v27, v24
	v_fmac_f16_e32 v43, 0x34f2, v12
	v_fma_f16 v45, -0.5, v33, v27
	v_sub_f16_e32 v33, v40, v50
	v_fmac_f16_e32 v0, 0x34f2, v12
	v_add_f16_e32 v12, v24, v58
	v_fmac_f16_e32 v44, 0xb8b4, v6
	v_add_f16_e32 v30, v35, v30
	;; [unrolled: 2-line block ×3, first 2 shown]
	v_fmamk_f16 v7, v33, 0xbb9c, v45
	v_sub_f16_e32 v35, v38, v39
	v_sub_f16_e32 v38, v24, v25
	;; [unrolled: 1-line block ×3, first 2 shown]
	v_fmac_f16_e32 v27, -0.5, v12
	v_fmac_f16_e32 v45, 0x3b9c, v33
	v_sub_f16_e32 v24, v25, v24
	v_sub_f16_e32 v25, v57, v58
	v_fmac_f16_e32 v44, 0x34f2, v30
	v_fmac_f16_e32 v13, 0x34f2, v30
	;; [unrolled: 1-line block ×3, first 2 shown]
	v_add_f16_e32 v12, v38, v39
	v_fmamk_f16 v50, v35, 0x3b9c, v27
	v_fmac_f16_e32 v45, 0x38b4, v35
	v_add_f16_e32 v24, v24, v25
	v_fmac_f16_e32 v27, 0xbb9c, v35
	v_add_f16_e32 v25, v14, v34
	v_add_f16_e32 v30, v36, v37
	v_fmac_f16_e32 v7, 0x34f2, v12
	v_fmac_f16_e32 v50, 0xb8b4, v33
	;; [unrolled: 1-line block ×4, first 2 shown]
	v_add_f16_e32 v12, v25, v36
	v_fma_f16 v51, -0.5, v30, v14
	v_add_f16_e32 v25, v34, v26
	v_sub_f16_e32 v30, v32, v31
	v_fmac_f16_e32 v50, 0x34f2, v24
	v_fmac_f16_e32 v27, 0x34f2, v24
	v_sub_f16_e32 v24, v28, v29
	v_fmac_f16_e32 v14, -0.5, v25
	v_fmamk_f16 v52, v30, 0xbb9c, v51
	v_sub_f16_e32 v25, v34, v36
	v_sub_f16_e32 v28, v26, v37
	v_fmac_f16_e32 v51, 0x3b9c, v30
	v_add_f16_e32 v12, v12, v37
	v_fmamk_f16 v53, v24, 0x3b9c, v14
	v_sub_f16_e32 v29, v36, v34
	v_sub_f16_e32 v31, v37, v26
	v_fmac_f16_e32 v52, 0xb8b4, v24
	v_add_f16_e32 v25, v25, v28
	v_fmac_f16_e32 v51, 0x38b4, v24
	v_fmac_f16_e32 v14, 0xbb9c, v24
	;; [unrolled: 1-line block ×3, first 2 shown]
	v_add_f16_e32 v54, v29, v31
	v_add_f16_e32 v12, v12, v26
	v_fmac_f16_e32 v52, 0x34f2, v25
	v_fmac_f16_e32 v51, 0x34f2, v25
	;; [unrolled: 1-line block ×3, first 2 shown]
	s_waitcnt lgkmcnt(0)
	s_barrier
	buffer_gl0_inv
	ds_read_u16 v37, v22
	ds_read_u16 v30, v23 offset:750
	ds_read_u16 v24, v20
	ds_read_u16 v25, v20 offset:1000
	ds_read_u16 v26, v20 offset:1250
	;; [unrolled: 1-line block ×11, first 2 shown]
	ds_read_u16 v38, v21
	ds_read_u16 v32, v20 offset:3750
	v_add_f16_e32 v5, v5, v62
	v_add_f16_e32 v6, v6, v57
	v_fmac_f16_e32 v53, 0x34f2, v54
	v_fmac_f16_e32 v14, 0x34f2, v54
	s_waitcnt lgkmcnt(0)
	v_add_f16_e32 v5, v5, v59
	v_add_f16_e32 v6, v6, v58
	s_barrier
	buffer_gl0_inv
	v_add_f16_e32 v5, v5, v60
	ds_write_b16 v47, v5
	ds_write_b16 v47, v43 offset:50
	ds_write_b16 v47, v44 offset:100
	ds_write_b16 v47, v13 offset:150
	ds_write_b16 v47, v0 offset:200
	ds_write_b16 v46, v6
	ds_write_b16 v46, v7 offset:50
	ds_write_b16 v46, v50 offset:100
	ds_write_b16 v46, v27 offset:150
	ds_write_b16 v46, v45 offset:200
	;; [unrolled: 5-line block ×3, first 2 shown]
	s_and_saveexec_b32 s1, s0
	s_cbranch_execz .LBB0_35
; %bb.34:
	v_add_f16_e32 v0, v48, v49
	v_sub_f16_e32 v2, v3, v2
	v_sub_f16_e32 v3, v4, v11
	v_add_f16_e32 v4, v42, v41
	v_add_f16_e32 v5, v1, v42
	v_fma_f16 v0, -0.5, v0, v1
	v_sub_f16_e32 v6, v42, v48
	v_sub_f16_e32 v7, v41, v49
	v_fmac_f16_e32 v1, -0.5, v4
	v_add_f16_e32 v5, v5, v48
	v_fmamk_f16 v4, v2, 0xbb9c, v0
	v_sub_f16_e32 v10, v48, v42
	v_sub_f16_e32 v11, v49, v41
	v_fmamk_f16 v12, v3, 0x3b9c, v1
	v_fmac_f16_e32 v1, 0xbb9c, v3
	v_fmac_f16_e32 v0, 0x3b9c, v2
	v_add_f16_e32 v5, v5, v49
	v_fmac_f16_e32 v4, 0xb8b4, v3
	v_add_f16_e32 v6, v6, v7
	;; [unrolled: 2-line block ×3, first 2 shown]
	v_fmac_f16_e32 v1, 0x38b4, v2
	v_fmac_f16_e32 v0, 0x38b4, v3
	v_add_f16_e32 v2, v5, v41
	v_fmac_f16_e32 v4, 0x34f2, v6
	v_fmac_f16_e32 v12, 0x34f2, v7
	;; [unrolled: 1-line block ×4, first 2 shown]
	ds_write_b16 v9, v2 offset:3750
	ds_write_b16 v9, v4 offset:3800
	;; [unrolled: 1-line block ×5, first 2 shown]
.LBB0_35:
	s_or_b32 exec_lo, exec_lo, s1
	s_waitcnt lgkmcnt(0)
	s_barrier
	buffer_gl0_inv
	s_and_saveexec_b32 s0, vcc_lo
	s_cbranch_execz .LBB0_37
; %bb.36:
	v_mul_u32_u24_e32 v0, 15, v8
	v_mul_lo_u32 v27, s5, v17
	v_mul_lo_u32 v65, s4, v18
	v_mad_u64_u32 v[41:42], null, s4, v17, 0
	v_lshlrev_b32_e32 v12, 2, v0
	v_mad_u64_u32 v[43:44], null, s2, v19, 0
	v_add_nc_u32_e32 v67, 0x7d, v19
	v_add_nc_u32_e32 v68, 0xfa, v19
	s_clause 0x3
	global_load_dwordx4 v[0:3], v12, s[12:13] offset:496
	global_load_dwordx4 v[4:7], v12, s[12:13] offset:480
	;; [unrolled: 1-line block ×3, first 2 shown]
	global_load_dwordx3 v[12:14], v12, s[12:13] offset:528
	ds_read_u16 v18, v23 offset:750
	ds_read_u16 v77, v22
	ds_read_u16 v17, v21
	ds_read_u16 v21, v20 offset:3750
	ds_read_u16 v78, v20 offset:3500
	;; [unrolled: 1-line block ×5, first 2 shown]
	v_add_nc_u32_e32 v69, 0x177, v19
	v_add_nc_u32_e32 v70, 0x1f4, v19
	;; [unrolled: 1-line block ×4, first 2 shown]
	v_mad_u64_u32 v[45:46], null, s2, v67, 0
	v_add_nc_u32_e32 v73, 0x36b, v19
	v_mad_u64_u32 v[47:48], null, s2, v68, 0
	v_add_nc_u32_e32 v74, 0x3e8, v19
	v_mad_u64_u32 v[49:50], null, s2, v69, 0
	v_add_nc_u32_e32 v75, 0x465, v19
	ds_read_u16 v81, v20 offset:2500
	ds_read_u16 v82, v20 offset:2250
	ds_read_u16 v83, v20 offset:2000
	ds_read_u16 v84, v20 offset:1750
	ds_read_u16 v85, v20 offset:1500
	ds_read_u16 v86, v20 offset:1250
	ds_read_u16 v87, v20 offset:1000
	ds_read_u16 v88, v20
	v_mad_u64_u32 v[51:52], null, s2, v70, 0
	v_mov_b32_e32 v20, v44
	v_mad_u64_u32 v[53:54], null, s2, v71, 0
	v_mad_u64_u32 v[55:56], null, s2, v72, 0
	;; [unrolled: 1-line block ×4, first 2 shown]
	v_add_nc_u32_e32 v76, 0x4e2, v19
	v_mad_u64_u32 v[61:62], null, s2, v75, 0
	v_add3_u32 v42, v42, v65, v27
	s_waitcnt lgkmcnt(12)
	v_mad_u64_u32 v[65:66], null, s3, v19, v[20:21]
	v_mov_b32_e32 v20, v46
	v_mov_b32_e32 v23, v48
	;; [unrolled: 1-line block ×5, first 2 shown]
	v_mad_u64_u32 v[63:64], null, s2, v76, 0
	v_mov_b32_e32 v48, v56
	v_mad_u64_u32 v[66:67], null, s3, v67, v[20:21]
	v_mov_b32_e32 v50, v58
	;; [unrolled: 2-line block ×4, first 2 shown]
	v_mad_u64_u32 v[69:70], null, s3, v70, v[44:45]
	v_mad_u64_u32 v[70:71], null, s3, v71, v[46:47]
	v_mad_u64_u32 v[71:72], null, s3, v72, v[48:49]
	v_mad_u64_u32 v[72:73], null, s3, v73, v[50:51]
	v_mad_u64_u32 v[73:74], null, s3, v74, v[52:53]
	v_lshlrev_b64 v[41:42], 2, v[41:42]
	v_mov_b32_e32 v56, v64
	v_mad_u64_u32 v[74:75], null, s3, v75, v[54:55]
	v_lshlrev_b64 v[15:16], 2, v[15:16]
	v_mov_b32_e32 v44, v65
	v_mad_u64_u32 v[75:76], null, s3, v76, v[56:57]
	v_add_co_u32 v20, vcc_lo, s10, v41
	v_add_co_ci_u32_e32 v23, vcc_lo, s11, v42, vcc_lo
	v_mov_b32_e32 v46, v66
	v_mov_b32_e32 v48, v67
	;; [unrolled: 1-line block ×9, first 2 shown]
	v_add_co_u32 v20, vcc_lo, v20, v15
	v_add_co_ci_u32_e32 v23, vcc_lo, v23, v16, vcc_lo
	v_lshlrev_b64 v[15:16], 2, v[43:44]
	v_mov_b32_e32 v64, v75
	v_lshlrev_b64 v[41:42], 2, v[45:46]
	v_lshlrev_b64 v[43:44], 2, v[47:48]
	;; [unrolled: 1-line block ×9, first 2 shown]
	v_add_co_u32 v15, vcc_lo, v20, v15
	v_add_co_ci_u32_e32 v16, vcc_lo, v23, v16, vcc_lo
	v_add_co_u32 v41, vcc_lo, v20, v41
	v_add_co_ci_u32_e32 v42, vcc_lo, v23, v42, vcc_lo
	;; [unrolled: 2-line block ×8, first 2 shown]
	v_add_nc_u32_e32 v89, 0x55f, v19
	v_add_co_u32 v55, vcc_lo, v20, v55
	v_add_co_ci_u32_e32 v56, vcc_lo, v23, v56, vcc_lo
	v_add_co_u32 v57, vcc_lo, v20, v57
	v_add_co_ci_u32_e32 v58, vcc_lo, v23, v58, vcc_lo
	s_waitcnt vmcnt(3) lgkmcnt(5)
	v_mul_f16_sdwa v27, v83, v3 dst_sel:DWORD dst_unused:UNUSED_PAD src0_sel:DWORD src1_sel:WORD_1
	s_waitcnt vmcnt(2)
	v_mul_f16_sdwa v59, v25, v7 dst_sel:DWORD dst_unused:UNUSED_PAD src0_sel:DWORD src1_sel:WORD_1
	s_waitcnt vmcnt(1)
	v_mul_f16_sdwa v60, v28, v11 dst_sel:DWORD dst_unused:UNUSED_PAD src0_sel:DWORD src1_sel:WORD_1
	v_mul_f16_sdwa v61, v77, v5 dst_sel:DWORD dst_unused:UNUSED_PAD src0_sel:DWORD src1_sel:WORD_1
	;; [unrolled: 1-line block ×4, first 2 shown]
	s_waitcnt vmcnt(0)
	v_mul_f16_sdwa v66, v39, v13 dst_sel:DWORD dst_unused:UNUSED_PAD src0_sel:DWORD src1_sel:WORD_1
	v_mul_f16_sdwa v67, v37, v5 dst_sel:DWORD dst_unused:UNUSED_PAD src0_sel:DWORD src1_sel:WORD_1
	;; [unrolled: 1-line block ×3, first 2 shown]
	s_waitcnt lgkmcnt(3)
	v_mul_f16_sdwa v69, v85, v1 dst_sel:DWORD dst_unused:UNUSED_PAD src0_sel:DWORD src1_sel:WORD_1
	v_mul_f16_sdwa v70, v78, v13 dst_sel:DWORD dst_unused:UNUSED_PAD src0_sel:DWORD src1_sel:WORD_1
	;; [unrolled: 1-line block ×16, first 2 shown]
	s_waitcnt lgkmcnt(2)
	v_mul_f16_sdwa v98, v86, v0 dst_sel:DWORD dst_unused:UNUSED_PAD src0_sel:DWORD src1_sel:WORD_1
	v_mul_f16_sdwa v99, v79, v12 dst_sel:DWORD dst_unused:UNUSED_PAD src0_sel:DWORD src1_sel:WORD_1
	;; [unrolled: 1-line block ×3, first 2 shown]
	s_waitcnt lgkmcnt(1)
	v_mul_f16_sdwa v101, v87, v7 dst_sel:DWORD dst_unused:UNUSED_PAD src0_sel:DWORD src1_sel:WORD_1
	v_mul_f16_sdwa v102, v80, v11 dst_sel:DWORD dst_unused:UNUSED_PAD src0_sel:DWORD src1_sel:WORD_1
	v_fma_f16 v37, v37, v5, -v61
	v_fma_f16 v40, v40, v9, -v62
	v_fmac_f16_e32 v65, v85, v1
	v_fmac_f16_e32 v66, v78, v13
	v_fmac_f16_e32 v67, v5, v77
	v_fmac_f16_e32 v68, v9, v81
	v_fma_f16 v1, v35, v1, -v69
	v_fma_f16 v5, v39, v13, -v70
	;; [unrolled: 1-line block ×3, first 2 shown]
	v_fmac_f16_e32 v59, v87, v7
	v_fmac_f16_e32 v60, v80, v11
	v_fma_f16 v13, v38, v4, -v71
	v_fma_f16 v27, v34, v8, -v72
	v_fmac_f16_e32 v73, v86, v0
	v_fmac_f16_e32 v74, v79, v12
	v_fma_f16 v30, v30, v6, -v75
	v_fma_f16 v33, v33, v10, -v76
	v_fmac_f16_e32 v90, v84, v2
	v_fmac_f16_e32 v91, v21, v14
	;; [unrolled: 1-line block ×4, first 2 shown]
	v_fma_f16 v2, v29, v2, -v94
	v_fma_f16 v6, v32, v14, -v95
	v_fmac_f16_e32 v96, v4, v17
	v_fmac_f16_e32 v97, v8, v82
	v_fma_f16 v0, v26, v0, -v98
	v_fma_f16 v4, v31, v12, -v99
	v_fmac_f16_e32 v100, v3, v83
	v_fma_f16 v3, v25, v7, -v101
	v_fma_f16 v7, v28, v11, -v102
	v_sub_f16_e32 v8, v24, v9
	v_sub_f16_e32 v9, v59, v60
	;; [unrolled: 1-line block ×14, first 2 shown]
	s_waitcnt lgkmcnt(0)
	v_sub_f16_e32 v26, v88, v100
	v_sub_f16_e32 v7, v3, v7
	v_sub_f16_e32 v27, v8, v9
	v_sub_f16_e32 v28, v10, v11
	v_add_f16_e32 v29, v12, v5
	v_sub_f16_e32 v31, v14, v17
	v_sub_f16_e32 v32, v18, v21
	v_add_f16_e32 v33, v22, v6
	v_add_f16_e32 v34, v25, v4
	;; [unrolled: 1-line block ×3, first 2 shown]
	v_fma_f16 v24, v24, 2.0, -v8
	v_fma_f16 v3, v3, 2.0, -v7
	;; [unrolled: 1-line block ×24, first 2 shown]
	v_fmamk_f16 v26, v28, 0x39a8, v27
	v_fmamk_f16 v38, v32, 0x39a8, v31
	;; [unrolled: 1-line block ×4, first 2 shown]
	v_sub_f16_e32 v3, v24, v3
	v_sub_f16_e32 v11, v7, v11
	;; [unrolled: 1-line block ×8, first 2 shown]
	v_fmamk_f16 v59, v8, 0xb9a8, v5
	v_fmamk_f16 v60, v14, 0xb9a8, v12
	;; [unrolled: 1-line block ×4, first 2 shown]
	v_fmac_f16_e32 v26, 0xb9a8, v29
	v_fmac_f16_e32 v38, 0xb9a8, v33
	;; [unrolled: 1-line block ×4, first 2 shown]
	v_sub_f16_e32 v28, v3, v11
	v_sub_f16_e32 v29, v0, v21
	v_add_f16_e32 v32, v17, v2
	v_add_f16_e32 v33, v1, v9
	v_fma_f16 v24, v24, 2.0, -v3
	v_fma_f16 v1, v37, 2.0, -v1
	;; [unrolled: 1-line block ×8, first 2 shown]
	v_fmac_f16_e32 v59, 0xb9a8, v10
	v_fmac_f16_e32 v60, 0xb9a8, v18
	;; [unrolled: 1-line block ×4, first 2 shown]
	v_fmamk_f16 v14, v38, 0x3b64, v26
	v_fmamk_f16 v21, v29, 0x39a8, v28
	v_fma_f16 v8, v27, 2.0, -v26
	v_fma_f16 v13, v34, 2.0, -v39
	;; [unrolled: 1-line block ×3, first 2 shown]
	v_sub_f16_e32 v1, v24, v1
	v_sub_f16_e32 v4, v36, v4
	;; [unrolled: 1-line block ×4, first 2 shown]
	v_fma_f16 v17, v17, 2.0, -v32
	v_fma_f16 v9, v9, 2.0, -v33
	v_fmamk_f16 v18, v39, 0x3b64, v40
	v_fmamk_f16 v30, v32, 0x39a8, v33
	v_fma_f16 v10, v31, 2.0, -v38
	v_fma_f16 v3, v3, 2.0, -v28
	;; [unrolled: 1-line block ×3, first 2 shown]
	v_fmac_f16_e32 v14, 0xb61f, v39
	v_fmac_f16_e32 v21, 0xb9a8, v32
	v_fmamk_f16 v32, v13, 0xb61f, v27
	v_sub_f16_e32 v35, v1, v4
	v_add_f16_e32 v37, v7, v2
	v_fmamk_f16 v39, v17, 0xb9a8, v9
	v_fma_f16 v5, v5, 2.0, -v59
	v_fma_f16 v12, v12, 2.0, -v60
	;; [unrolled: 1-line block ×8, first 2 shown]
	v_fmac_f16_e32 v18, 0x361f, v38
	v_fmac_f16_e32 v30, 0x39a8, v29
	v_fmamk_f16 v29, v10, 0xb61f, v8
	v_fmamk_f16 v38, v0, 0xb9a8, v3
	v_fmac_f16_e32 v32, 0x3b64, v10
	v_fmac_f16_e32 v39, 0x39a8, v0
	v_fma_f16 v0, v1, 2.0, -v35
	v_fma_f16 v1, v7, 2.0, -v37
	v_fmamk_f16 v7, v12, 0xbb64, v5
	v_fmamk_f16 v10, v22, 0xbb64, v25
	v_fmamk_f16 v31, v60, 0x361f, v59
	v_fmamk_f16 v34, v61, 0x361f, v62
	v_sub_f16_e32 v2, v24, v2
	v_sub_f16_e32 v4, v6, v4
	v_fmac_f16_e32 v29, 0xbb64, v13
	v_fmac_f16_e32 v38, 0xb9a8, v17
	v_fma_f16 v13, v28, 2.0, -v21
	v_fma_f16 v17, v33, 2.0, -v30
	v_fmac_f16_e32 v7, 0xb61f, v22
	v_fmac_f16_e32 v10, 0x361f, v12
	;; [unrolled: 1-line block ×4, first 2 shown]
	v_fma_f16 v12, v24, 2.0, -v2
	v_fma_f16 v6, v6, 2.0, -v4
	v_pack_b32_f16 v0, v0, v1
	v_pack_b32_f16 v1, v13, v17
	v_fma_f16 v5, v5, 2.0, -v7
	v_fma_f16 v13, v25, 2.0, -v10
	;; [unrolled: 1-line block ×10, first 2 shown]
	v_pack_b32_f16 v2, v2, v4
	v_pack_b32_f16 v4, v12, v6
	;; [unrolled: 1-line block ×3, first 2 shown]
	v_add_nc_u32_e32 v10, 0x5dc, v19
	v_pack_b32_f16 v5, v5, v13
	v_pack_b32_f16 v3, v3, v9
	v_pack_b32_f16 v6, v8, v27
	v_add_nc_u32_e32 v12, 0x659, v19
	v_pack_b32_f16 v11, v11, v26
	v_pack_b32_f16 v8, v28, v33
	global_store_dword v[15:16], v4, off
	global_store_dword v[41:42], v5, off
	;; [unrolled: 1-line block ×10, first 2 shown]
	v_mad_u64_u32 v[2:3], null, s2, v89, 0
	v_mad_u64_u32 v[4:5], null, s2, v10, 0
	v_mad_u64_u32 v[6:7], null, s2, v12, 0
	v_lshlrev_b64 v[0:1], 2, v[63:64]
	v_add_nc_u32_e32 v15, 0x6d6, v19
	v_pack_b32_f16 v13, v38, v39
	v_mad_u64_u32 v[8:9], null, s3, v89, v[3:4]
	v_mad_u64_u32 v[9:10], null, s3, v10, v[5:6]
	v_mov_b32_e32 v5, v7
	v_mad_u64_u32 v[10:11], null, s2, v15, 0
	v_add_co_u32 v0, vcc_lo, v20, v0
	v_mov_b32_e32 v3, v8
	v_mad_u64_u32 v[7:8], null, s3, v12, v[5:6]
	v_add_nc_u32_e32 v12, 0x753, v19
	v_add_co_ci_u32_e32 v1, vcc_lo, v23, v1, vcc_lo
	v_mov_b32_e32 v5, v9
	v_mad_u64_u32 v[8:9], null, s2, v12, 0
	global_store_dword v[0:1], v13, off
	v_lshlrev_b64 v[0:1], 2, v[2:3]
	v_mov_b32_e32 v2, v11
	v_lshlrev_b64 v[4:5], 2, v[4:5]
	v_lshlrev_b64 v[6:7], 2, v[6:7]
	v_mad_u64_u32 v[2:3], null, s3, v15, v[2:3]
	v_mov_b32_e32 v3, v9
	v_add_co_u32 v0, vcc_lo, v20, v0
	v_add_co_ci_u32_e32 v1, vcc_lo, v23, v1, vcc_lo
	v_mad_u64_u32 v[12:13], null, s3, v12, v[3:4]
	v_mov_b32_e32 v11, v2
	v_add_co_u32 v2, vcc_lo, v20, v4
	v_add_co_ci_u32_e32 v3, vcc_lo, v23, v5, vcc_lo
	v_lshlrev_b64 v[4:5], 2, v[10:11]
	v_mov_b32_e32 v9, v12
	v_add_co_u32 v6, vcc_lo, v20, v6
	v_add_co_ci_u32_e32 v7, vcc_lo, v23, v7, vcc_lo
	v_lshlrev_b64 v[8:9], 2, v[8:9]
	v_add_co_u32 v4, vcc_lo, v20, v4
	v_pack_b32_f16 v15, v29, v32
	v_pack_b32_f16 v13, v35, v37
	v_add_co_ci_u32_e32 v5, vcc_lo, v23, v5, vcc_lo
	v_pack_b32_f16 v10, v31, v34
	v_add_co_u32 v8, vcc_lo, v20, v8
	v_pack_b32_f16 v11, v21, v30
	v_add_co_ci_u32_e32 v9, vcc_lo, v23, v9, vcc_lo
	v_pack_b32_f16 v12, v14, v18
	global_store_dword v[0:1], v15, off
	global_store_dword v[2:3], v13, off
	;; [unrolled: 1-line block ×5, first 2 shown]
.LBB0_37:
	s_endpgm
	.section	.rodata,"a",@progbits
	.p2align	6, 0x0
	.amdhsa_kernel fft_rtc_fwd_len2000_factors_5_5_5_16_wgs_125_tpt_125_halfLds_half_op_CI_CI_sbrr_dirReg
		.amdhsa_group_segment_fixed_size 0
		.amdhsa_private_segment_fixed_size 0
		.amdhsa_kernarg_size 104
		.amdhsa_user_sgpr_count 6
		.amdhsa_user_sgpr_private_segment_buffer 1
		.amdhsa_user_sgpr_dispatch_ptr 0
		.amdhsa_user_sgpr_queue_ptr 0
		.amdhsa_user_sgpr_kernarg_segment_ptr 1
		.amdhsa_user_sgpr_dispatch_id 0
		.amdhsa_user_sgpr_flat_scratch_init 0
		.amdhsa_user_sgpr_private_segment_size 0
		.amdhsa_wavefront_size32 1
		.amdhsa_uses_dynamic_stack 0
		.amdhsa_system_sgpr_private_segment_wavefront_offset 0
		.amdhsa_system_sgpr_workgroup_id_x 1
		.amdhsa_system_sgpr_workgroup_id_y 0
		.amdhsa_system_sgpr_workgroup_id_z 0
		.amdhsa_system_sgpr_workgroup_info 0
		.amdhsa_system_vgpr_workitem_id 0
		.amdhsa_next_free_vgpr 105
		.amdhsa_next_free_sgpr 31
		.amdhsa_reserve_vcc 1
		.amdhsa_reserve_flat_scratch 0
		.amdhsa_float_round_mode_32 0
		.amdhsa_float_round_mode_16_64 0
		.amdhsa_float_denorm_mode_32 3
		.amdhsa_float_denorm_mode_16_64 3
		.amdhsa_dx10_clamp 1
		.amdhsa_ieee_mode 1
		.amdhsa_fp16_overflow 0
		.amdhsa_workgroup_processor_mode 1
		.amdhsa_memory_ordered 1
		.amdhsa_forward_progress 0
		.amdhsa_shared_vgpr_count 0
		.amdhsa_exception_fp_ieee_invalid_op 0
		.amdhsa_exception_fp_denorm_src 0
		.amdhsa_exception_fp_ieee_div_zero 0
		.amdhsa_exception_fp_ieee_overflow 0
		.amdhsa_exception_fp_ieee_underflow 0
		.amdhsa_exception_fp_ieee_inexact 0
		.amdhsa_exception_int_div_zero 0
	.end_amdhsa_kernel
	.text
.Lfunc_end0:
	.size	fft_rtc_fwd_len2000_factors_5_5_5_16_wgs_125_tpt_125_halfLds_half_op_CI_CI_sbrr_dirReg, .Lfunc_end0-fft_rtc_fwd_len2000_factors_5_5_5_16_wgs_125_tpt_125_halfLds_half_op_CI_CI_sbrr_dirReg
                                        ; -- End function
	.section	.AMDGPU.csdata,"",@progbits
; Kernel info:
; codeLenInByte = 13256
; NumSgprs: 33
; NumVgprs: 105
; ScratchSize: 0
; MemoryBound: 0
; FloatMode: 240
; IeeeMode: 1
; LDSByteSize: 0 bytes/workgroup (compile time only)
; SGPRBlocks: 4
; VGPRBlocks: 13
; NumSGPRsForWavesPerEU: 33
; NumVGPRsForWavesPerEU: 105
; Occupancy: 9
; WaveLimiterHint : 1
; COMPUTE_PGM_RSRC2:SCRATCH_EN: 0
; COMPUTE_PGM_RSRC2:USER_SGPR: 6
; COMPUTE_PGM_RSRC2:TRAP_HANDLER: 0
; COMPUTE_PGM_RSRC2:TGID_X_EN: 1
; COMPUTE_PGM_RSRC2:TGID_Y_EN: 0
; COMPUTE_PGM_RSRC2:TGID_Z_EN: 0
; COMPUTE_PGM_RSRC2:TIDIG_COMP_CNT: 0
	.text
	.p2alignl 6, 3214868480
	.fill 48, 4, 3214868480
	.type	__hip_cuid_7df4733c51da6bfd,@object ; @__hip_cuid_7df4733c51da6bfd
	.section	.bss,"aw",@nobits
	.globl	__hip_cuid_7df4733c51da6bfd
__hip_cuid_7df4733c51da6bfd:
	.byte	0                               ; 0x0
	.size	__hip_cuid_7df4733c51da6bfd, 1

	.ident	"AMD clang version 19.0.0git (https://github.com/RadeonOpenCompute/llvm-project roc-6.4.0 25133 c7fe45cf4b819c5991fe208aaa96edf142730f1d)"
	.section	".note.GNU-stack","",@progbits
	.addrsig
	.addrsig_sym __hip_cuid_7df4733c51da6bfd
	.amdgpu_metadata
---
amdhsa.kernels:
  - .args:
      - .actual_access:  read_only
        .address_space:  global
        .offset:         0
        .size:           8
        .value_kind:     global_buffer
      - .offset:         8
        .size:           8
        .value_kind:     by_value
      - .actual_access:  read_only
        .address_space:  global
        .offset:         16
        .size:           8
        .value_kind:     global_buffer
      - .actual_access:  read_only
        .address_space:  global
        .offset:         24
        .size:           8
        .value_kind:     global_buffer
      - .actual_access:  read_only
        .address_space:  global
        .offset:         32
        .size:           8
        .value_kind:     global_buffer
      - .offset:         40
        .size:           8
        .value_kind:     by_value
      - .actual_access:  read_only
        .address_space:  global
        .offset:         48
        .size:           8
        .value_kind:     global_buffer
      - .actual_access:  read_only
        .address_space:  global
        .offset:         56
        .size:           8
        .value_kind:     global_buffer
      - .offset:         64
        .size:           4
        .value_kind:     by_value
      - .actual_access:  read_only
        .address_space:  global
        .offset:         72
        .size:           8
        .value_kind:     global_buffer
      - .actual_access:  read_only
        .address_space:  global
        .offset:         80
        .size:           8
        .value_kind:     global_buffer
      - .actual_access:  read_only
        .address_space:  global
        .offset:         88
        .size:           8
        .value_kind:     global_buffer
      - .actual_access:  write_only
        .address_space:  global
        .offset:         96
        .size:           8
        .value_kind:     global_buffer
    .group_segment_fixed_size: 0
    .kernarg_segment_align: 8
    .kernarg_segment_size: 104
    .language:       OpenCL C
    .language_version:
      - 2
      - 0
    .max_flat_workgroup_size: 125
    .name:           fft_rtc_fwd_len2000_factors_5_5_5_16_wgs_125_tpt_125_halfLds_half_op_CI_CI_sbrr_dirReg
    .private_segment_fixed_size: 0
    .sgpr_count:     33
    .sgpr_spill_count: 0
    .symbol:         fft_rtc_fwd_len2000_factors_5_5_5_16_wgs_125_tpt_125_halfLds_half_op_CI_CI_sbrr_dirReg.kd
    .uniform_work_group_size: 1
    .uses_dynamic_stack: false
    .vgpr_count:     105
    .vgpr_spill_count: 0
    .wavefront_size: 32
    .workgroup_processor_mode: 1
amdhsa.target:   amdgcn-amd-amdhsa--gfx1030
amdhsa.version:
  - 1
  - 2
...

	.end_amdgpu_metadata
